;; amdgpu-corpus repo=ROCm/aiter kind=harvested arch=n/a opt=n/a

/root/src/amdgpu-assembly/repos/ROCm__aiter/hsa/gfx950/fmoe_2stages/fmoe_stage1_bf16_pertokenFp8_blockscale_g1u1_64x128_2tg_pf3.co:	file format elf64-amdgpu

Disassembly of section .text:

0000000000002a00 <_ZN5aiter59fmoe_stage1_bf16_pertokenFp8_blockscale_g1u1_64x128_2tg_pf3E>:
	s_and_b32 s1, s1, 0xffff                                   // 000000002A00: 8601FF01 0000FFFF
	s_load_dwordx2 s[8:9], s[0:1], 0x0                         // 000000002A08: C0060200 00000000
	s_load_dwordx2 s[20:21], s[0:1], 0x10                      // 000000002A10: C0060500 00000010
	s_load_dwordx2 s[24:25], s[0:1], 0x20                      // 000000002A18: C0060600 00000020
	s_load_dwordx2 s[48:49], s[0:1], 0x30                      // 000000002A20: C0060C00 00000030
	s_load_dwordx2 s[28:29], s[0:1], 0x40                      // 000000002A28: C0060700 00000040
	s_load_dwordx2 s[32:33], s[0:1], 0x50                      // 000000002A30: C0060800 00000050
	s_load_dwordx2 s[36:37], s[0:1], 0x60                      // 000000002A38: C0060900 00000060
	s_load_dwordx2 s[12:13], s[0:1], 0x70                      // 000000002A40: C0060300 00000070
	s_load_dwordx2 s[44:45], s[0:1], 0x80                      // 000000002A48: C0060B00 00000080
	s_mov_b32 s89, 0                                           // 000000002A50: BED90080
	s_load_dword s64, s[0:1], 0x90                             // 000000002A54: C0021000 00000090
	s_load_dword s65, s[0:1], 0xa0                             // 000000002A5C: C0021040 000000A0
	s_load_dword s66, s[0:1], 0xb0                             // 000000002A64: C0021080 000000B0
	s_load_dword s67, s[0:1], 0xc0                             // 000000002A6C: C00210C0 000000C0
	s_load_dword s68, s[0:1], 0xd0                             // 000000002A74: C0021100 000000D0
	s_load_dword s69, s[0:1], 0xe0                             // 000000002A7C: C0021140 000000E0
	s_load_dword s71, s[0:1], 0xf0                             // 000000002A84: C00211C0 000000F0
	s_load_dword s72, s[0:1], 0x100                            // 000000002A8C: C0021200 00000100
	s_load_dword s74, s[0:1], 0x110                            // 000000002A94: C0021280 00000110
	s_load_dword s76, s[0:1], 0x120                            // 000000002A9C: C0021300 00000120
	s_load_dword s56, s[0:1], 0x130                            // 000000002AA4: C0020E00 00000130
	s_load_dword s88, s[0:1], 0x140                            // 000000002AAC: C0021600 00000140
	s_load_dword s89, s[0:1], 0x150                            // 000000002AB4: C0021640 00000150
	v_lshrrev_b32_e32 v1, 10, v0                               // 000000002ABC: 2002008A
	v_lshrrev_b32_e32 v2, 10, v1                               // 000000002AC0: 2004028A
	v_and_b32_e32 v2, 0x3ff, v2                                // 000000002AC4: 260404FF 000003FF
	v_and_b32_e32 v1, 0x3ff, v1                                // 000000002ACC: 260202FF 000003FF
	v_and_b32_e32 v0, 0x3ff, v0                                // 000000002AD4: 260000FF 000003FF
	v_lshrrev_b32_e32 v3, 6, v0                                // 000000002ADC: 20060086
	v_and_b32_e32 v0, 63, v0                                   // 000000002AE0: 260000BF
	s_mov_b32 s2, s2                                           // 000000002AE4: BE820002
	s_mov_b32 s3, s3                                           // 000000002AE8: BE830003
	s_mov_b32 s4, s4                                           // 000000002AEC: BE840004
	v_readfirstlane_b32 s7, v3                                 // 000000002AF0: 7E0E0503
	s_waitcnt lgkmcnt(0)                                       // 000000002AF4: BF8CC07F
	s_and_b32 s49, s49, 0xffff                                 // 000000002AF8: 8631FF31 0000FFFF
	s_load_dword s48, s[48:49], 0x0                            // 000000002B00: C0020C18 00000000
	s_and_b32 s45, s45, 0xffff                                 // 000000002B08: 862DFF2D 0000FFFF
	s_and_b32 s9, s9, 0xffff                                   // 000000002B10: 8609FF09 0000FFFF
	s_mul_i32 s60, s66, s68                                    // 000000002B18: 923C4442
	s_mul_i32 s61, s66, 4                                      // 000000002B1C: 923D8442
	s_mov_b32 s22, s60                                         // 000000002B20: BE96003C
	s_mov_b32 s26, -16                                         // 000000002B24: BE9A00D0
	s_mov_b32 s30, s61                                         // 000000002B28: BE9E003D
	s_mov_b32 s14, 0x100                                       // 000000002B2C: BE8E00FF 00000100
	s_mov_b32 s38, -16                                         // 000000002B34: BEA600D0
	s_mov_b32 s10, -16                                         // 000000002B38: BE8A00D0
	s_lshr_b32 s60, s64, 7                                     // 000000002B3C: 8F3C8740
	s_mul_i32 s61, s60, 4                                      // 000000002B40: 923D843C
	s_lshr_b32 s60, s65, 7                                     // 000000002B44: 8F3C8741
	s_add_u32 s60, s60, 1                                      // 000000002B48: 803C813C
	s_mul_i32 s60, s60, s61                                    // 000000002B4C: 923C3D3C
	s_mov_b32 s34, s60                                         // 000000002B50: BEA2003C
	s_mov_b32 s23, 0x20000                                     // 000000002B54: BE9700FF 00020000
	s_mov_b32 s27, 0x20000                                     // 000000002B5C: BE9B00FF 00020000
	s_mov_b32 s31, 0x20000                                     // 000000002B64: BE9F00FF 00020000
	s_mov_b32 s35, 0x20000                                     // 000000002B6C: BEA300FF 00020000
	s_mov_b32 s15, 0x20000                                     // 000000002B74: BE8F00FF 00020000
	s_mov_b32 s39, 0x20000                                     // 000000002B7C: BEA700FF 00020000
	s_mov_b32 s11, 0x20000                                     // 000000002B84: BE8B00FF 00020000
	s_and_b32 s21, s21, 0xffff                                 // 000000002B8C: 8615FF15 0000FFFF
	s_and_b32 s25, s25, 0xffff                                 // 000000002B94: 8619FF19 0000FFFF
	s_and_b32 s29, s29, 0xffff                                 // 000000002B9C: 861DFF1D 0000FFFF
	s_and_b32 s33, s33, 0xffff                                 // 000000002BA4: 8621FF21 0000FFFF
	s_and_b32 s13, s13, 0xffff                                 // 000000002BAC: 860DFF0D 0000FFFF
	s_and_b32 s37, s37, 0xffff                                 // 000000002BB4: 8625FF25 0000FFFF
	s_or_b32 s21, s21, 0x40000                                 // 000000002BBC: 8715FF15 00040000
	s_or_b32 s25, s25, 0x40000                                 // 000000002BC4: 8719FF19 00040000
	s_or_b32 s29, s29, 0x40000                                 // 000000002BCC: 871DFF1D 00040000
	s_or_b32 s33, s33, 0x40000                                 // 000000002BD4: 8721FF21 00040000
	s_or_b32 s13, s13, 0x40000                                 // 000000002BDC: 870DFF0D 00040000
	s_or_b32 s37, s37, 0x40000                                 // 000000002BE4: 8725FF25 00040000
	v_accvgpr_write_b32 a111, 0                                // 000000002BEC: D3D9406F 18000080
	v_mov_b32_e32 v119, 0                                      // 000000002BF4: 7EEE0280
	s_waitcnt lgkmcnt(0)                                       // 000000002BF8: BF8CC07F
	s_mul_i32 s60, s3, 64                                      // 000000002BFC: 923CC003
	s_cmp_lt_i32 s60, s48                                      // 000000002C00: BF04303C
	s_cbranch_scc0 label_2766                                  // 000000002C04: BF8426E1
	s_mov_b32 s80, 0                                           // 000000002C08: BED00080
	s_lshr_b32 s81, s64, s88                                   // 000000002C0C: 8F515840
	s_mul_i32 s60, s3, 4                                       // 000000002C10: 923C8403
	s_add_u32 s44, s60, s44                                    // 000000002C14: 802C2C3C
	s_addc_u32 s45, 0, s45                                     // 000000002C18: 822D2D80
	s_load_dword s5, s[44:45], 0x0                             // 000000002C1C: C0020156 00000000
	s_mul_i32 s60, s3, 64                                      // 000000002C24: 923CC003
	s_mul_i32 s60, 4, s60                                      // 000000002C28: 923C3C84
	s_add_u32 s12, s60, s12                                    // 000000002C2C: 800C0C3C
	s_addc_u32 s13, 0, s13                                     // 000000002C30: 820D0D80
	v_and_b32_e32 v4, 15, v0                                   // 000000002C34: 2608008F
	v_lshlrev_b32_e32 v4, 2, v4                                // 000000002C38: 24080882
	buffer_load_dword v30, v4, s[12:15], 0 offen               // 000000002C3C: E0501000 80031E04
	v_add_u32_e32 v4, 64, v4                                   // 000000002C44: 680808C0
	buffer_load_dword v31, v4, s[12:15], 0 offen               // 000000002C48: E0501000 80031F04
	v_add_u32_e32 v4, 64, v4                                   // 000000002C50: 680808C0
	buffer_load_dword v32, v4, s[12:15], 0 offen               // 000000002C54: E0501000 80032004
	v_add_u32_e32 v4, 64, v4                                   // 000000002C5C: 680808C0
	buffer_load_dword v33, v4, s[12:15], 0 offen               // 000000002C60: E0501000 80032104
	v_add_u32_e32 v4, 64, v4                                   // 000000002C68: 680808C0
	s_mul_i32 s60, 4, s7                                       // 000000002C6C: 923C0784
	v_lshlrev_b32_e32 v4, 4, v0                                // 000000002C70: 24080084
	v_add_u32_e32 v4, s60, v4                                  // 000000002C74: 6808083C
	buffer_load_dword v3, v4, s[12:15], 0 offen                // 000000002C78: E0501000 80030304
	v_mov_b32_e32 v56, 0                                       // 000000002C80: 7E700280
	v_mov_b32_e32 v88, 0                                       // 000000002C84: 7EB00280
	v_mov_b32_e32 v57, 0                                       // 000000002C88: 7E720280
	v_mov_b32_e32 v89, 0                                       // 000000002C8C: 7EB20280
	v_mov_b32_e32 v58, 0                                       // 000000002C90: 7E740280
	v_mov_b32_e32 v90, 0                                       // 000000002C94: 7EB40280
	v_mov_b32_e32 v59, 0                                       // 000000002C98: 7E760280
	v_mov_b32_e32 v91, 0                                       // 000000002C9C: 7EB60280
	v_mov_b32_e32 v60, 0                                       // 000000002CA0: 7E780280
	v_mov_b32_e32 v92, 0                                       // 000000002CA4: 7EB80280
	v_mov_b32_e32 v61, 0                                       // 000000002CA8: 7E7A0280
	v_mov_b32_e32 v93, 0                                       // 000000002CAC: 7EBA0280
	v_mov_b32_e32 v62, 0                                       // 000000002CB0: 7E7C0280
	v_mov_b32_e32 v94, 0                                       // 000000002CB4: 7EBC0280
	v_mov_b32_e32 v63, 0                                       // 000000002CB8: 7E7E0280
	v_mov_b32_e32 v95, 0                                       // 000000002CBC: 7EBE0280
	v_mov_b32_e32 v64, 0                                       // 000000002CC0: 7E800280
	v_mov_b32_e32 v96, 0                                       // 000000002CC4: 7EC00280
	v_mov_b32_e32 v65, 0                                       // 000000002CC8: 7E820280
	v_mov_b32_e32 v97, 0                                       // 000000002CCC: 7EC20280
	v_mov_b32_e32 v66, 0                                       // 000000002CD0: 7E840280
	v_mov_b32_e32 v98, 0                                       // 000000002CD4: 7EC40280
	v_mov_b32_e32 v67, 0                                       // 000000002CD8: 7E860280
	v_mov_b32_e32 v99, 0                                       // 000000002CDC: 7EC60280
	v_mov_b32_e32 v68, 0                                       // 000000002CE0: 7E880280
	v_mov_b32_e32 v100, 0                                      // 000000002CE4: 7EC80280
	v_mov_b32_e32 v69, 0                                       // 000000002CE8: 7E8A0280
	v_mov_b32_e32 v101, 0                                      // 000000002CEC: 7ECA0280
	v_mov_b32_e32 v70, 0                                       // 000000002CF0: 7E8C0280
	v_mov_b32_e32 v102, 0                                      // 000000002CF4: 7ECC0280
	v_mov_b32_e32 v71, 0                                       // 000000002CF8: 7E8E0280
	v_mov_b32_e32 v103, 0                                      // 000000002CFC: 7ECE0280
	v_mov_b32_e32 v72, 0                                       // 000000002D00: 7E900280
	v_mov_b32_e32 v104, 0                                      // 000000002D04: 7ED00280
	v_mov_b32_e32 v73, 0                                       // 000000002D08: 7E920280
	v_mov_b32_e32 v105, 0                                      // 000000002D0C: 7ED20280
	v_mov_b32_e32 v74, 0                                       // 000000002D10: 7E940280
	v_mov_b32_e32 v106, 0                                      // 000000002D14: 7ED40280
	v_mov_b32_e32 v75, 0                                       // 000000002D18: 7E960280
	v_mov_b32_e32 v107, 0                                      // 000000002D1C: 7ED60280
	v_mov_b32_e32 v76, 0                                       // 000000002D20: 7E980280
	v_mov_b32_e32 v108, 0                                      // 000000002D24: 7ED80280
	v_mov_b32_e32 v77, 0                                       // 000000002D28: 7E9A0280
	v_mov_b32_e32 v109, 0                                      // 000000002D2C: 7EDA0280
	v_mov_b32_e32 v78, 0                                       // 000000002D30: 7E9C0280
	v_mov_b32_e32 v110, 0                                      // 000000002D34: 7EDC0280
	v_mov_b32_e32 v79, 0                                       // 000000002D38: 7E9E0280
	v_mov_b32_e32 v111, 0                                      // 000000002D3C: 7EDE0280
	v_mov_b32_e32 v80, 0                                       // 000000002D40: 7EA00280
	v_mov_b32_e32 v112, 0                                      // 000000002D44: 7EE00280
	v_mov_b32_e32 v81, 0                                       // 000000002D48: 7EA20280
	v_mov_b32_e32 v113, 0                                      // 000000002D4C: 7EE20280
	v_mov_b32_e32 v82, 0                                       // 000000002D50: 7EA40280
	v_mov_b32_e32 v114, 0                                      // 000000002D54: 7EE40280
	v_mov_b32_e32 v83, 0                                       // 000000002D58: 7EA60280
	v_mov_b32_e32 v115, 0                                      // 000000002D5C: 7EE60280
	v_mov_b32_e32 v84, 0                                       // 000000002D60: 7EA80280
	v_mov_b32_e32 v116, 0                                      // 000000002D64: 7EE80280
	v_mov_b32_e32 v85, 0                                       // 000000002D68: 7EAA0280
	v_mov_b32_e32 v117, 0                                      // 000000002D6C: 7EEA0280
	v_mov_b32_e32 v86, 0                                       // 000000002D70: 7EAC0280
	v_mov_b32_e32 v118, 0                                      // 000000002D74: 7EEC0280
	v_mov_b32_e32 v87, 0                                       // 000000002D78: 7EAE0280
	v_mov_b32_e32 v119, 0                                      // 000000002D7C: 7EEE0280
	s_mul_i32 s60, s2, 0x80                                    // 000000002D80: 923CFF02 00000080
	s_cmp_eq_u32 s88, 0                                        // 000000002D88: BF068058
	s_cselect_b32 s61, 1, 4                                    // 000000002D8C: 853D8481
	s_mul_i32 s60, s60, s61                                    // 000000002D90: 923C3D3C
	s_mov_b32 s90, s8                                          // 000000002D94: BEDA0008
	s_mov_b32 s91, s9                                          // 000000002D98: BEDB0009
	s_add_u32 s8, s60, s8                                      // 000000002D9C: 8008083C
	s_addc_u32 s9, 0, s9                                       // 000000002DA0: 82090980
	v_lshrrev_b32_e32 v4, 4, v0                                // 000000002DA4: 20080084
	v_mul_lo_u32 v20, 34, v4                                   // 000000002DA8: D2850014 000208A2
	v_and_b32_e32 v4, 15, v0                                   // 000000002DB0: 2608008F
	v_mul_lo_u32 v5, 2, v4                                     // 000000002DB4: D2850005 00020882
	v_add_u32_e32 v20, v5, v20                                 // 000000002DBC: 68282905
	s_mul_i32 s60, s7, 0x88                                    // 000000002DC0: 923CFF07 00000088
	v_add_u32_e32 v20, s60, v20                                // 000000002DC8: 6828283C
	v_lshlrev_b32_e32 v20, 2, v20                              // 000000002DCC: 24282882
	v_and_b32_e32 v4, 31, v0                                   // 000000002DD0: 2608009F
	v_lshrrev_b32_e32 v4, 1, v4                                // 000000002DD4: 20080881
	v_mul_lo_u32 v21, 34, v4                                   // 000000002DD8: D2850015 000208A2
	v_lshrrev_b32_e32 v4, 5, v0                                // 000000002DE0: 20080085
	v_mul_lo_u32 v4, 8, v4                                     // 000000002DE4: D2850004 00020888
	v_add_u32_e32 v21, v21, v4                                 // 000000002DEC: 682A0915
	v_and_b32_e32 v5, 1, v0                                    // 000000002DF0: 260A0081
	v_add_u32_e32 v21, v5, v21                                 // 000000002DF4: 682A2B05
	s_mul_i32 s60, s7, 2                                       // 000000002DF8: 923C8207
	v_add_u32_e32 v21, s60, v21                                // 000000002DFC: 682A2A3C
	v_lshlrev_b32_e32 v21, 2, v21                              // 000000002E00: 242A2A82
	s_mul_i32 s60, s7, 0x820                                   // 000000002E04: 923CFF07 00000820
	s_add_u32 s48, 0, s60                                      // 000000002E0C: 80303C80
	s_add_u32 s49, 0x2080, s48                                 // 000000002E10: 803130FF 00002080
	s_add_u32 s50, 0x2080, s49                                 // 000000002E18: 803231FF 00002080
	v_lshrrev_b32_e32 v4, 4, v0                                // 000000002E20: 20080084
	v_lshlrev_b32_e32 v5, 2, v4                                // 000000002E24: 240A0882
	v_and_b32_e32 v4, 15, v0                                   // 000000002E28: 2608008F
	v_lshrrev_b32_e32 v6, 2, v4                                // 000000002E2C: 200C0882
	v_lshlrev_b32_e32 v6, 5, v6                                // 000000002E30: 240C0C85
	v_add_u32_e32 v5, v6, v5                                   // 000000002E34: 680A0B06
	v_and_b32_e32 v4, 3, v0                                    // 000000002E38: 26080083
	v_mul_u32_u24_e32 v6, 0x208, v4                            // 000000002E3C: 100C08FF 00000208
	v_add_u32_e32 v5, v6, v5                                   // 000000002E44: 680A0B06
	v_lshlrev_b32_e32 v2, 2, v5                                // 000000002E48: 24040A82
	s_waitcnt lgkmcnt(0)                                       // 000000002E4C: BF8CC07F
	s_mul_i32 s60, s2, 0x80                                    // 000000002E50: 923CFF02 00000080
	s_mul_i32 s60, s60, s69                                    // 000000002E58: 923C453C
	s_mul_i32 s61, s5, s72                                     // 000000002E5C: 923D4805
	s_add_u32 s60, s61, s60                                    // 000000002E60: 803C3C3D
	s_add_u32 s24, s60, s24                                    // 000000002E64: 8018183C
	s_addc_u32 s25, 0, s25                                     // 000000002E68: 82191980
	s_lshr_b32 s60, s64, s88                                   // 000000002E6C: 8F3C5840
	s_mul_i32 s60, s4, s60                                     // 000000002E70: 923C3C04
	s_lshr_b32 s60, s60, 7                                     // 000000002E74: 8F3C873C
	s_mul_i32 s60, s60, 0x800                                  // 000000002E78: 923CFF3C 00000800
	s_add_u32 s24, s60, s24                                    // 000000002E80: 8018183C
	s_addc_u32 s25, 0, s25                                     // 000000002E84: 82191980
	s_lshr_b32 s60, s69, s88                                   // 000000002E88: 8F3C5845
	s_mul_i32 s60, s4, s60                                     // 000000002E8C: 923C3C04
	s_add_u32 s20, s60, s20                                    // 000000002E90: 8014143C
	s_addc_u32 s21, 0, s21                                     // 000000002E94: 82151580
	s_mul_i32 s60, s7, 16                                      // 000000002E98: 923C9007
	s_mul_i32 s60, s60, s69                                    // 000000002E9C: 923C453C
	v_lshlrev_b32_e32 v54, 4, v0                               // 000000002EA0: 246C0084
	v_add_u32_e32 v54, s60, v54                                // 000000002EA4: 686C6C3C
	s_mul_i32 s60, 64, s69                                     // 000000002EA8: 923C45C0
	v_add_u32_e32 v55, s60, v54                                // 000000002EAC: 686E6C3C
	s_mov_b32 s84, s24                                         // 000000002EB0: BED40018
	s_mov_b32 s85, s25                                         // 000000002EB4: BED50019
	s_mov_b32 s86, s26                                         // 000000002EB8: BED6001A
	s_mov_b32 s87, s27                                         // 000000002EBC: BED7001B
	s_mul_i32 s60, s69, s65                                    // 000000002EC0: 923C4145
	s_add_u32 s84, s60, s84                                    // 000000002EC4: 8054543C
	s_addc_u32 s85, 0, s85                                     // 000000002EC8: 82555580
	s_lshr_b32 s60, s64, 7                                     // 000000002ECC: 8F3C8740
	s_mul_i32 s61, s60, 4                                      // 000000002ED0: 923D843C
	v_and_b32_e32 v22, 15, v0                                  // 000000002ED4: 262C008F
	v_mul_lo_u32 v22, v22, s61                                 // 000000002ED8: D2850016 00007B16
	s_lshr_b32 s60, s65, 7                                     // 000000002EE0: 8F3C8741
	s_mul_i32 s60, s60, s61                                    // 000000002EE4: 923C3D3C
	v_add_u32_e64 v23, v22, s60                                // 000000002EE8: D1340017 00007916
	s_mul_i32 s60, s2, 1                                       // 000000002EF0: 923C8102
	s_mul_i32 s60, s60, s61                                    // 000000002EF4: 923C3D3C
	s_mul_i32 s61, s5, s74                                     // 000000002EF8: 923D4A05
	s_add_u32 s61, s61, s60                                    // 000000002EFC: 803D3C3D
	s_add_u32 s32, s61, s32                                    // 000000002F00: 8020203D
	s_addc_u32 s33, 0, s33                                     // 000000002F04: 82212180
	s_lshr_b32 s60, s64, 7                                     // 000000002F08: 8F3C8740
	s_lshr_b32 s60, s60, s88                                   // 000000002F0C: 8F3C583C
	s_mul_i32 s60, s4, s60                                     // 000000002F10: 923C3C04
	s_mul_i32 s61, s60, 4                                      // 000000002F14: 923D843C
	s_add_u32 s32, s61, s32                                    // 000000002F18: 8020203D
	s_addc_u32 s33, 0, s33                                     // 000000002F1C: 82212180
	s_lshl_b32 s62, s66, 2                                     // 000000002F20: 8E3E8242
	s_mul_i32 s62, s60, s62                                    // 000000002F24: 923E3E3C
	s_add_u32 s28, s62, s28                                    // 000000002F28: 801C1C3E
	s_addc_u32 s29, 0, s29                                     // 000000002F2C: 821D1D80
	s_mov_b32 s4, 4                                            // 000000002F30: BE840084
	s_mov_b32 s57, 0x80                                        // 000000002F34: BEB900FF 00000080
	s_mov_b32 s58, 0x800                                       // 000000002F3C: BEBA00FF 00000800
	s_mov_b32 s83, s58                                         // 000000002F44: BED3003A
	s_mov_b32 s52, 0x7060302                                   // 000000002F48: BEB400FF 07060302
	s_mov_b32 s53, 0x400                                       // 000000002F50: BEB500FF 00000400
	s_mov_b32 s54, 0x40100                                     // 000000002F58: BEB600FF 00040100
	s_mov_b32 s55, 0x4020100                                   // 000000002F60: BEB700FF 04020100
	s_mov_b32 s6, 0x3fb8aa3b                                   // 000000002F68: BE8600FF 3FB8AA3B
	s_mov_b32 s78, 0xbd92220c                                  // 000000002F70: BECE00FF BD92220C
	s_mov_b32 s79, 0xbd92220c                                  // 000000002F78: BECF00FF BD92220C
	s_mov_b32 m0, s48                                          // 000000002F80: BEFC0030
	v_mov_b32_e32 v1, 0xbfcc4231                               // 000000002F84: 7E0202FF BFCC4231
	v_mov_b32_e32 v17, 0xffff0000                              // 000000002F8C: 7E2202FF FFFF0000
	v_mov_b32_e32 v18, 0x7fff0000                              // 000000002F94: 7E2402FF 7FFF0000
	v_mov_b32_e32 v19, 0x7fff                                  // 000000002F9C: 7E2602FF 00007FFF
	s_waitcnt vmcnt(0) expcnt(0) lgkmcnt(0)                    // 000000002FA4: BF8C0000
	v_lshrrev_b32_e32 v4, 5, v0                                // 000000002FA8: 20080085
	v_xor_b32_e32 v5, 1, v4                                    // 000000002FAC: 2A0A0881
	v_readlane_b32 s82, v3, 0                                  // 000000002FB0: D2890052 00010103
	s_and_b32 s82, s82, 0xffffff                               // 000000002FB8: 8652FF52 00FFFFFF
	v_mul_lo_u32 v6, v5, s82                                   // 000000002FC0: D2850006 0000A505
	v_readlane_b32 s82, v3, 1                                  // 000000002FC8: D2890052 00010303
	s_and_b32 s82, s82, 0xffffff                               // 000000002FD0: 8652FF52 00FFFFFF
	v_mul_lo_u32 v7, v4, s82                                   // 000000002FD8: D2850007 0000A504
	v_add_u32_e32 v46, v6, v7                                  // 000000002FE0: 685C0F06
	v_mul_lo_u32 v46, v46, s68                                 // 000000002FE4: D285002E 0000892E
	v_readlane_b32 s82, v3, 2                                  // 000000002FEC: D2890052 00010503
	s_and_b32 s82, s82, 0xffffff                               // 000000002FF4: 8652FF52 00FFFFFF
	v_mul_lo_u32 v6, v5, s82                                   // 000000002FFC: D2850006 0000A505
	v_readlane_b32 s82, v3, 3                                  // 000000003004: D2890052 00010703
	s_and_b32 s82, s82, 0xffffff                               // 00000000300C: 8652FF52 00FFFFFF
	v_mul_lo_u32 v7, v4, s82                                   // 000000003014: D2850007 0000A504
	v_add_u32_e32 v47, v6, v7                                  // 00000000301C: 685E0F06
	v_mul_lo_u32 v47, v47, s68                                 // 000000003020: D285002F 0000892F
	v_readlane_b32 s82, v3, 4                                  // 000000003028: D2890052 00010903
	s_and_b32 s82, s82, 0xffffff                               // 000000003030: 8652FF52 00FFFFFF
	v_mul_lo_u32 v6, v5, s82                                   // 000000003038: D2850006 0000A505
	v_readlane_b32 s82, v3, 5                                  // 000000003040: D2890052 00010B03
	s_and_b32 s82, s82, 0xffffff                               // 000000003048: 8652FF52 00FFFFFF
	v_mul_lo_u32 v7, v4, s82                                   // 000000003050: D2850007 0000A504
	v_add_u32_e32 v48, v6, v7                                  // 000000003058: 68600F06
	v_mul_lo_u32 v48, v48, s68                                 // 00000000305C: D2850030 00008930
	v_readlane_b32 s82, v3, 6                                  // 000000003064: D2890052 00010D03
	s_and_b32 s82, s82, 0xffffff                               // 00000000306C: 8652FF52 00FFFFFF
	v_mul_lo_u32 v6, v5, s82                                   // 000000003074: D2850006 0000A505
	v_readlane_b32 s82, v3, 7                                  // 00000000307C: D2890052 00010F03
	s_and_b32 s82, s82, 0xffffff                               // 000000003084: 8652FF52 00FFFFFF
	v_mul_lo_u32 v7, v4, s82                                   // 00000000308C: D2850007 0000A504
	v_add_u32_e32 v49, v6, v7                                  // 000000003094: 68620F06
	v_mul_lo_u32 v49, v49, s68                                 // 000000003098: D2850031 00008931
	v_readlane_b32 s82, v3, 8                                  // 0000000030A0: D2890052 00011103
	s_and_b32 s82, s82, 0xffffff                               // 0000000030A8: 8652FF52 00FFFFFF
	v_mul_lo_u32 v6, v5, s82                                   // 0000000030B0: D2850006 0000A505
	v_readlane_b32 s82, v3, 9                                  // 0000000030B8: D2890052 00011303
	s_and_b32 s82, s82, 0xffffff                               // 0000000030C0: 8652FF52 00FFFFFF
	v_mul_lo_u32 v7, v4, s82                                   // 0000000030C8: D2850007 0000A504
	v_add_u32_e32 v50, v6, v7                                  // 0000000030D0: 68640F06
	v_mul_lo_u32 v50, v50, s68                                 // 0000000030D4: D2850032 00008932
	v_readlane_b32 s82, v3, 10                                 // 0000000030DC: D2890052 00011503
	s_and_b32 s82, s82, 0xffffff                               // 0000000030E4: 8652FF52 00FFFFFF
	v_mul_lo_u32 v6, v5, s82                                   // 0000000030EC: D2850006 0000A505
	v_readlane_b32 s82, v3, 11                                 // 0000000030F4: D2890052 00011703
	s_and_b32 s82, s82, 0xffffff                               // 0000000030FC: 8652FF52 00FFFFFF
	v_mul_lo_u32 v7, v4, s82                                   // 000000003104: D2850007 0000A504
	v_add_u32_e32 v51, v6, v7                                  // 00000000310C: 68660F06
	v_mul_lo_u32 v51, v51, s68                                 // 000000003110: D2850033 00008933
	v_readlane_b32 s82, v3, 12                                 // 000000003118: D2890052 00011903
	s_and_b32 s82, s82, 0xffffff                               // 000000003120: 8652FF52 00FFFFFF
	v_mul_lo_u32 v6, v5, s82                                   // 000000003128: D2850006 0000A505
	v_readlane_b32 s82, v3, 13                                 // 000000003130: D2890052 00011B03
	s_and_b32 s82, s82, 0xffffff                               // 000000003138: 8652FF52 00FFFFFF
	v_mul_lo_u32 v7, v4, s82                                   // 000000003140: D2850007 0000A504
	v_add_u32_e32 v52, v6, v7                                  // 000000003148: 68680F06
	v_mul_lo_u32 v52, v52, s68                                 // 00000000314C: D2850034 00008934
	v_readlane_b32 s82, v3, 14                                 // 000000003154: D2890052 00011D03
	s_and_b32 s82, s82, 0xffffff                               // 00000000315C: 8652FF52 00FFFFFF
	v_mul_lo_u32 v6, v5, s82                                   // 000000003164: D2850006 0000A505
	v_readlane_b32 s82, v3, 15                                 // 00000000316C: D2890052 00011F03
	s_and_b32 s82, s82, 0xffffff                               // 000000003174: 8652FF52 00FFFFFF
	v_mul_lo_u32 v7, v4, s82                                   // 00000000317C: D2850007 0000A504
	v_add_u32_e32 v53, v6, v7                                  // 000000003184: 686A0F06
	v_mul_lo_u32 v53, v53, s68                                 // 000000003188: D2850035 00008935
	v_and_b32_e32 v4, 31, v0                                   // 000000003190: 2608009F
	v_lshlrev_b32_e32 v4, 2, v4                                // 000000003194: 24080882
	v_add_u32_e32 v46, v46, v4                                 // 000000003198: 685C092E
	v_add_u32_e32 v47, v47, v4                                 // 00000000319C: 685E092F
	v_add_u32_e32 v48, v48, v4                                 // 0000000031A0: 68600930
	v_add_u32_e32 v49, v49, v4                                 // 0000000031A4: 68620931
	v_add_u32_e32 v50, v50, v4                                 // 0000000031A8: 68640932
	v_add_u32_e32 v51, v51, v4                                 // 0000000031AC: 68660933
	v_add_u32_e32 v52, v52, v4                                 // 0000000031B0: 68680934
	v_add_u32_e32 v53, v53, v4                                 // 0000000031B4: 686A0935
	v_and_b32_e32 v30, 0xffffff, v30                           // 0000000031B8: 263C3CFF 00FFFFFF
	v_lshlrev_b32_e32 v30, 2, v30                              // 0000000031C0: 243C3C82
	v_and_b32_e32 v31, 0xffffff, v31                           // 0000000031C4: 263E3EFF 00FFFFFF
	v_lshlrev_b32_e32 v31, 2, v31                              // 0000000031CC: 243E3E82
	v_and_b32_e32 v32, 0xffffff, v32                           // 0000000031D0: 264040FF 00FFFFFF
	v_lshlrev_b32_e32 v32, 2, v32                              // 0000000031D8: 24404082
	v_and_b32_e32 v33, 0xffffff, v33                           // 0000000031DC: 264242FF 00FFFFFF
	v_lshlrev_b32_e32 v33, 2, v33                              // 0000000031E4: 24424282
	s_lshl_b32 s3, s66, 2                                      // 0000000031E8: 8E038242
	buffer_load_dword v46, s[20:23], 0 offen lds               // 0000000031EC: E0511000 8005002E
	s_add_u32 m0, 0x100, s48                                   // 0000000031F4: 807C30FF 00000100
	buffer_load_dword v47, s[20:23], 0 offen lds               // 0000000031FC: E0511000 8005002F
	s_add_u32 m0, 0x200, s48                                   // 000000003204: 807C30FF 00000200
	buffer_load_dword v48, s[20:23], 0 offen lds               // 00000000320C: E0511000 80050030
	s_add_u32 m0, 0x300, s48                                   // 000000003214: 807C30FF 00000300
	buffer_load_dword v49, s[20:23], 0 offen lds               // 00000000321C: E0511000 80050031
	s_add_u32 m0, 0x400, s48                                   // 000000003224: 807C30FF 00000400
	buffer_load_dword v50, s[20:23], 0 offen lds               // 00000000322C: E0511000 80050032
	s_add_u32 m0, 0x500, s48                                   // 000000003234: 807C30FF 00000500
	buffer_load_dword v51, s[20:23], 0 offen lds               // 00000000323C: E0511000 80050033
	s_add_u32 m0, 0x600, s48                                   // 000000003244: 807C30FF 00000600
	buffer_load_dword v52, s[20:23], 0 offen lds               // 00000000324C: E0511000 80050034
	s_add_u32 m0, 0x700, s48                                   // 000000003254: 807C30FF 00000700
	buffer_load_dword v53, s[20:23], 0 offen lds               // 00000000325C: E0511000 80050035
	s_add_u32 m0, 0, s49                                       // 000000003264: 807C3180
	s_add_u32 s20, s57, s20                                    // 000000003268: 80141439
	s_addc_u32 s21, 0, s21                                     // 00000000326C: 82151580
	buffer_load_dword v34, v30, s[28:31], 0 offen              // 000000003270: E0501000 8007221E
	buffer_load_dword v35, v31, s[28:31], 0 offen              // 000000003278: E0501000 8007231F
	buffer_load_dword v36, v32, s[28:31], 0 offen              // 000000003280: E0501000 80072420
	buffer_load_dword v37, v33, s[28:31], 0 offen              // 000000003288: E0501000 80072521
	s_add_u32 s28, s3, s28                                     // 000000003290: 801C1C03
	s_addc_u32 s29, 0, s29                                     // 000000003294: 821D1D80
	buffer_load_dwordx4 a[64:67], v54, s[24:27], 0 offen       // 000000003298: E05C1000 80864036
	buffer_load_dwordx4 a[68:71], v54, s[24:27], 0 offen offset:1024// 0000000032A0: E05C1400 80864436
	buffer_load_dwordx4 a[72:75], v55, s[24:27], 0 offen       // 0000000032A8: E05C1000 80864837
	buffer_load_dwordx4 a[76:79], v55, s[24:27], 0 offen offset:1024// 0000000032B0: E05C1400 80864C37
	s_add_u32 s24, s58, s24                                    // 0000000032B8: 8018183A
	s_addc_u32 s25, 0, s25                                     // 0000000032BC: 82191980
	buffer_load_dword v24, v22, s[32:35], 0 offen              // 0000000032C0: E0501000 80081816
	buffer_load_dword v46, s[20:23], 0 offen lds               // 0000000032C8: E0511000 8005002E
	s_add_u32 m0, 0x100, s49                                   // 0000000032D0: 807C31FF 00000100
	buffer_load_dword v47, s[20:23], 0 offen lds               // 0000000032D8: E0511000 8005002F
	s_add_u32 m0, 0x200, s49                                   // 0000000032E0: 807C31FF 00000200
	buffer_load_dword v48, s[20:23], 0 offen lds               // 0000000032E8: E0511000 80050030
	s_add_u32 m0, 0x300, s49                                   // 0000000032F0: 807C31FF 00000300
	buffer_load_dword v49, s[20:23], 0 offen lds               // 0000000032F8: E0511000 80050031
	s_add_u32 m0, 0x400, s49                                   // 000000003300: 807C31FF 00000400
	buffer_load_dword v50, s[20:23], 0 offen lds               // 000000003308: E0511000 80050032
	s_add_u32 m0, 0x500, s49                                   // 000000003310: 807C31FF 00000500
	buffer_load_dword v51, s[20:23], 0 offen lds               // 000000003318: E0511000 80050033
	;; [unrolled: 2-line block ×4, first 2 shown]
	s_add_u32 m0, 0, s50                                       // 000000003340: 807C3280
	s_add_u32 s20, s57, s20                                    // 000000003344: 80141439
	s_addc_u32 s21, 0, s21                                     // 000000003348: 82151580
	buffer_load_dword v38, v30, s[28:31], 0 offen              // 00000000334C: E0501000 8007261E
	buffer_load_dword v39, v31, s[28:31], 0 offen              // 000000003354: E0501000 8007271F
	buffer_load_dword v40, v32, s[28:31], 0 offen              // 00000000335C: E0501000 80072820
	buffer_load_dword v41, v33, s[28:31], 0 offen              // 000000003364: E0501000 80072921
	s_add_u32 s28, s3, s28                                     // 00000000336C: 801C1C03
	s_addc_u32 s29, 0, s29                                     // 000000003370: 821D1D80
	buffer_load_dwordx4 a[80:83], v54, s[84:87], 0 offen       // 000000003374: E05C1000 80955036
	buffer_load_dwordx4 a[84:87], v54, s[84:87], 0 offen offset:1024// 00000000337C: E05C1400 80955436
	buffer_load_dwordx4 a[88:91], v55, s[84:87], 0 offen       // 000000003384: E05C1000 80955837
	buffer_load_dwordx4 a[92:95], v55, s[84:87], 0 offen offset:1024// 00000000338C: E05C1400 80955C37
	s_add_u32 s84, s83, s84                                    // 000000003394: 80545453
	s_addc_u32 s85, 0, s85                                     // 000000003398: 82555580
	buffer_load_dword v27, v23, s[32:35], 0 offen              // 00000000339C: E0501000 80081B17
	s_add_u32 s32, s4, s32                                     // 0000000033A4: 80202004
	s_addc_u32 s33, 0, s33                                     // 0000000033A8: 82212180
	s_waitcnt vmcnt(26)                                        // 0000000033AC: BF8C4F7A
	s_barrier                                                  // 0000000033B0: BF8A0000
	ds_read_b128 a[0:3], v2                                    // 0000000033B4: DBFE0000 00000002
	ds_read_b128 a[4:7], v2 offset:64                          // 0000000033BC: DBFE0040 04000002
	ds_read_b128 a[8:11], v2 offset:512                        // 0000000033C4: DBFE0200 08000002
	ds_read_b128 a[12:15], v2 offset:576                       // 0000000033CC: DBFE0240 0C000002
	ds_read_b128 a[16:19], v2 offset:1024                      // 0000000033D4: DBFE0400 10000002
	ds_read_b128 a[20:23], v2 offset:1088                      // 0000000033DC: DBFE0440 14000002
	ds_read_b128 a[24:27], v2 offset:1536                      // 0000000033E4: DBFE0600 18000002
	ds_read_b128 a[28:31], v2 offset:1600                      // 0000000033EC: DBFE0640 1C000002
	s_cmp_lt_i32 s7, 2                                         // 0000000033F4: BF048207
	s_cbranch_scc0 label_14F4                                  // 0000000033F8: BF841272

00000000000033fc <label_027F>:
	s_waitcnt vmcnt(17) lgkmcnt(0)                             // 0000000033FC: BF8C4071
	v_mul_f32_dpp v4, v24, v34 row_newbcast:0 row_mask:0xf bank_mask:0xf// 000000003400: 0A0844FA FF015018
	v_mfma_f32_16x16x32_fp8_fp8 v[8:11], a[64:65], a[0:1], 0   // 000000003408: D3F30008 1A020140
	buffer_load_dword v25, v22, s[32:35], 0 offen              // 000000003410: E0501000 80081916
	v_mfma_f32_16x16x32_fp8_fp8 v[8:11], a[66:67], a[2:3], v[8:11]// 000000003418: D3F30008 1C220542
	buffer_load_dwordx4 a[96:99], v54, s[24:27], 0 offen       // 000000003420: E05C1000 80866036
	v_mfma_f32_16x16x32_fp8_fp8 v[8:11], a[68:69], a[4:5], v[8:11]// 000000003428: D3F30008 1C220944
	v_mfma_f32_16x16x32_fp8_fp8 v[8:11], a[70:71], a[6:7], v[8:11]// 000000003430: D3F30008 1C220D46
	v_mfma_f32_16x16x32_fp8_fp8 v[12:15], a[72:73], a[0:1], 0  // 000000003438: D3F3000C 1A020148
	v_mfma_f32_16x16x32_fp8_fp8 v[12:15], a[74:75], a[2:3], v[12:15]// 000000003440: D3F3000C 1C32054A
	buffer_load_dwordx4 a[100:103], v54, s[24:27], 0 offen offset:1024// 000000003448: E05C1400 80866436
	v_mfma_f32_16x16x32_fp8_fp8 v[12:15], a[76:77], a[4:5], v[12:15]// 000000003450: D3F3000C 1C32094C
	v_mfma_f32_16x16x32_fp8_fp8 v[12:15], a[78:79], a[6:7], v[12:15]// 000000003458: D3F3000C 1C320D4E
	v_fma_f32 v56, v8, v4, v56                                 // 000000003460: D1CB0038 04E20908
	v_fma_f32 v57, v9, v4, v57                                 // 000000003468: D1CB0039 04E60909
	v_fma_f32 v58, v10, v4, v58                                // 000000003470: D1CB003A 04EA090A
	v_fma_f32 v59, v11, v4, v59                                // 000000003478: D1CB003B 04EE090B
	v_mul_f32_dpp v6, v24, v35 row_newbcast:0 row_mask:0xf bank_mask:0xf// 000000003480: 0A0C46FA FF015018
	v_mfma_f32_16x16x32_fp8_fp8 v[8:11], a[64:65], a[8:9], 0   // 000000003488: D3F30008 1A021140
	v_mfma_f32_16x16x32_fp8_fp8 v[8:11], a[66:67], a[10:11], v[8:11]// 000000003490: D3F30008 1C221542
	buffer_load_dwordx4 a[104:107], v55, s[24:27], 0 offen     // 000000003498: E05C1000 80866837
	v_mfma_f32_16x16x32_fp8_fp8 v[8:11], a[68:69], a[12:13], v[8:11]// 0000000034A0: D3F30008 1C221944
	v_mfma_f32_16x16x32_fp8_fp8 v[8:11], a[70:71], a[14:15], v[8:11]// 0000000034A8: D3F30008 1C221D46
	v_fma_f32 v72, v12, v4, v72                                // 0000000034B0: D1CB0048 0522090C
	v_fma_f32 v73, v13, v4, v73                                // 0000000034B8: D1CB0049 0526090D
	v_fma_f32 v74, v14, v4, v74                                // 0000000034C0: D1CB004A 052A090E
	v_fma_f32 v75, v15, v4, v75                                // 0000000034C8: D1CB004B 052E090F
	v_mfma_f32_16x16x32_fp8_fp8 v[12:15], a[72:73], a[8:9], 0  // 0000000034D0: D3F3000C 1A021148
	v_mfma_f32_16x16x32_fp8_fp8 v[12:15], a[74:75], a[10:11], v[12:15]// 0000000034D8: D3F3000C 1C32154A
	buffer_load_dwordx4 a[108:111], v55, s[24:27], 0 offen offset:1024// 0000000034E0: E05C1400 80866C37
	buffer_load_dword v46, s[20:23], 0 offen lds               // 0000000034E8: E0511000 8005002E
	s_add_u32 m0, 0x100, s50                                   // 0000000034F0: 807C32FF 00000100
	v_mfma_f32_16x16x32_fp8_fp8 v[12:15], a[76:77], a[12:13], v[12:15]// 0000000034F8: D3F3000C 1C32194C
	v_mfma_f32_16x16x32_fp8_fp8 v[12:15], a[78:79], a[14:15], v[12:15]// 000000003500: D3F3000C 1C321D4E
	buffer_load_dword v47, s[20:23], 0 offen lds               // 000000003508: E0511000 8005002F
	s_add_u32 m0, 0x200, s50                                   // 000000003510: 807C32FF 00000200
	v_fma_f32 v60, v8, v6, v60                                 // 000000003518: D1CB003C 04F20D08
	v_fma_f32 v61, v9, v6, v61                                 // 000000003520: D1CB003D 04F60D09
	v_fma_f32 v62, v10, v6, v62                                // 000000003528: D1CB003E 04FA0D0A
	v_fma_f32 v63, v11, v6, v63                                // 000000003530: D1CB003F 04FE0D0B
	v_mul_f32_dpp v4, v24, v36 row_newbcast:0 row_mask:0xf bank_mask:0xf// 000000003538: 0A0848FA FF015018
	v_mfma_f32_16x16x32_fp8_fp8 v[8:11], a[64:65], a[16:17], 0 // 000000003540: D3F30008 1A022140
	v_mfma_f32_16x16x32_fp8_fp8 v[8:11], a[66:67], a[18:19], v[8:11]// 000000003548: D3F30008 1C222542
	buffer_load_dword v48, s[20:23], 0 offen lds               // 000000003550: E0511000 80050030
	s_add_u32 m0, 0x300, s50                                   // 000000003558: 807C32FF 00000300
	v_mfma_f32_16x16x32_fp8_fp8 v[8:11], a[68:69], a[20:21], v[8:11]// 000000003560: D3F30008 1C222944
	v_mfma_f32_16x16x32_fp8_fp8 v[8:11], a[70:71], a[22:23], v[8:11]// 000000003568: D3F30008 1C222D46
	buffer_load_dword v49, s[20:23], 0 offen lds               // 000000003570: E0511000 80050031
	s_add_u32 m0, 0x400, s50                                   // 000000003578: 807C32FF 00000400
	v_fma_f32 v76, v12, v6, v76                                // 000000003580: D1CB004C 05320D0C
	v_fma_f32 v77, v13, v6, v77                                // 000000003588: D1CB004D 05360D0D
	v_fma_f32 v78, v14, v6, v78                                // 000000003590: D1CB004E 053A0D0E
	v_fma_f32 v79, v15, v6, v79                                // 000000003598: D1CB004F 053E0D0F
	v_mfma_f32_16x16x32_fp8_fp8 v[12:15], a[72:73], a[16:17], 0// 0000000035A0: D3F3000C 1A022148
	v_mfma_f32_16x16x32_fp8_fp8 v[12:15], a[74:75], a[18:19], v[12:15]// 0000000035A8: D3F3000C 1C32254A
	buffer_load_dword v50, s[20:23], 0 offen lds               // 0000000035B0: E0511000 80050032
	s_add_u32 m0, 0x500, s50                                   // 0000000035B8: 807C32FF 00000500
	v_mfma_f32_16x16x32_fp8_fp8 v[12:15], a[76:77], a[20:21], v[12:15]// 0000000035C0: D3F3000C 1C32294C
	v_mfma_f32_16x16x32_fp8_fp8 v[12:15], a[78:79], a[22:23], v[12:15]// 0000000035C8: D3F3000C 1C322D4E
	buffer_load_dword v51, s[20:23], 0 offen lds               // 0000000035D0: E0511000 80050033
	s_add_u32 m0, 0x600, s50                                   // 0000000035D8: 807C32FF 00000600
	v_fma_f32 v64, v8, v4, v64                                 // 0000000035E0: D1CB0040 05020908
	v_fma_f32 v65, v9, v4, v65                                 // 0000000035E8: D1CB0041 05060909
	v_fma_f32 v66, v10, v4, v66                                // 0000000035F0: D1CB0042 050A090A
	v_fma_f32 v67, v11, v4, v67                                // 0000000035F8: D1CB0043 050E090B
	v_mul_f32_dpp v6, v24, v37 row_newbcast:0 row_mask:0xf bank_mask:0xf// 000000003600: 0A0C4AFA FF015018
	v_mfma_f32_16x16x32_fp8_fp8 v[8:11], a[64:65], a[24:25], 0 // 000000003608: D3F30008 1A023140
	v_mfma_f32_16x16x32_fp8_fp8 v[8:11], a[66:67], a[26:27], v[8:11]// 000000003610: D3F30008 1C223542
	buffer_load_dword v52, s[20:23], 0 offen lds               // 000000003618: E0511000 80050034
	s_add_u32 m0, 0x700, s50                                   // 000000003620: 807C32FF 00000700
	v_mfma_f32_16x16x32_fp8_fp8 v[8:11], a[68:69], a[28:29], v[8:11]// 000000003628: D3F30008 1C223944
	v_mfma_f32_16x16x32_fp8_fp8 v[8:11], a[70:71], a[30:31], v[8:11]// 000000003630: D3F30008 1C223D46
	buffer_load_dword v53, s[20:23], 0 offen lds               // 000000003638: E0511000 80050035
	s_add_u32 m0, 0, s48                                       // 000000003640: 807C3080
	v_fma_f32 v80, v12, v4, v80                                // 000000003644: D1CB0050 0542090C
	v_fma_f32 v81, v13, v4, v81                                // 00000000364C: D1CB0051 0546090D
	v_fma_f32 v82, v14, v4, v82                                // 000000003654: D1CB0052 054A090E
	v_fma_f32 v83, v15, v4, v83                                // 00000000365C: D1CB0053 054E090F
	v_mfma_f32_16x16x32_fp8_fp8 v[12:15], a[72:73], a[24:25], 0// 000000003664: D3F3000C 1A023148
	v_mfma_f32_16x16x32_fp8_fp8 v[12:15], a[74:75], a[26:27], v[12:15]// 00000000366C: D3F3000C 1C32354A
	buffer_load_dword v42, v30, s[28:31], 0 offen              // 000000003674: E0501000 80072A1E
	v_mfma_f32_16x16x32_fp8_fp8 v[12:15], a[76:77], a[28:29], v[12:15]// 00000000367C: D3F3000C 1C32394C
	v_mfma_f32_16x16x32_fp8_fp8 v[12:15], a[78:79], a[30:31], v[12:15]// 000000003684: D3F3000C 1C323D4E
	buffer_load_dword v43, v31, s[28:31], 0 offen              // 00000000368C: E0501000 80072B1F
	v_fma_f32 v68, v8, v6, v68                                 // 000000003694: D1CB0044 05120D08
	v_fma_f32 v69, v9, v6, v69                                 // 00000000369C: D1CB0045 05160D09
	v_fma_f32 v70, v10, v6, v70                                // 0000000036A4: D1CB0046 051A0D0A
	v_fma_f32 v71, v11, v6, v71                                // 0000000036AC: D1CB0047 051E0D0B
	v_fma_f32 v84, v12, v6, v84                                // 0000000036B4: D1CB0054 05520D0C
	v_fma_f32 v85, v13, v6, v85                                // 0000000036BC: D1CB0055 05560D0D
	v_fma_f32 v86, v14, v6, v86                                // 0000000036C4: D1CB0056 055A0D0E
	v_fma_f32 v87, v15, v6, v87                                // 0000000036CC: D1CB0057 055E0D0F
	buffer_load_dword v44, v32, s[28:31], 0 offen              // 0000000036D4: E0501000 80072C20
	buffer_load_dword v45, v33, s[28:31], 0 offen              // 0000000036DC: E0501000 80072D21
	s_waitcnt vmcnt(17)                                        // 0000000036E4: BF8C4F71
	s_barrier                                                  // 0000000036E8: BF8A0000
	v_mul_f32_dpp v4, v27, v34 row_newbcast:0 row_mask:0xf bank_mask:0xf// 0000000036EC: 0A0844FA FF01501B
	v_mfma_f32_16x16x32_fp8_fp8 v[8:11], a[80:81], a[0:1], 0   // 0000000036F4: D3F30008 1A020150
	buffer_load_dword v28, v23, s[32:35], 0 offen              // 0000000036FC: E0501000 80081C17
	v_mfma_f32_16x16x32_fp8_fp8 v[8:11], a[82:83], a[2:3], v[8:11]// 000000003704: D3F30008 1C220552
	buffer_load_dwordx4 a[64:67], v54, s[84:87], 0 offen       // 00000000370C: E05C1000 80954036
	v_mfma_f32_16x16x32_fp8_fp8 v[8:11], a[84:85], a[4:5], v[8:11]// 000000003714: D3F30008 1C220954
	v_mfma_f32_16x16x32_fp8_fp8 v[8:11], a[86:87], a[6:7], v[8:11]// 00000000371C: D3F30008 1C220D56
	ds_read_b128 a[32:35], v2 offset:8320                      // 000000003724: DBFE2080 20000002
	ds_read_b128 a[36:39], v2 offset:8384                      // 00000000372C: DBFE20C0 24000002
	v_mfma_f32_16x16x32_fp8_fp8 v[12:15], a[88:89], a[0:1], 0  // 000000003734: D3F3000C 1A020158
	v_mfma_f32_16x16x32_fp8_fp8 v[12:15], a[90:91], a[2:3], v[12:15]// 00000000373C: D3F3000C 1C32055A
	buffer_load_dwordx4 a[68:71], v54, s[84:87], 0 offen offset:1024// 000000003744: E05C1400 80954436
	v_mfma_f32_16x16x32_fp8_fp8 v[12:15], a[92:93], a[4:5], v[12:15]// 00000000374C: D3F3000C 1C32095C
	v_mfma_f32_16x16x32_fp8_fp8 v[12:15], a[94:95], a[6:7], v[12:15]// 000000003754: D3F3000C 1C320D5E
	ds_read_b128 a[40:43], v2 offset:8832                      // 00000000375C: DBFE2280 28000002
	ds_read_b128 a[44:47], v2 offset:8896                      // 000000003764: DBFE22C0 2C000002
	v_fma_f32 v88, v8, v4, v88                                 // 00000000376C: D1CB0058 05620908
	v_fma_f32 v89, v9, v4, v89                                 // 000000003774: D1CB0059 05660909
	v_fma_f32 v90, v10, v4, v90                                // 00000000377C: D1CB005A 056A090A
	v_fma_f32 v91, v11, v4, v91                                // 000000003784: D1CB005B 056E090B
	v_mul_f32_dpp v6, v27, v35 row_newbcast:0 row_mask:0xf bank_mask:0xf// 00000000378C: 0A0C46FA FF01501B
	v_mfma_f32_16x16x32_fp8_fp8 v[8:11], a[80:81], a[8:9], 0   // 000000003794: D3F30008 1A021150
	v_mfma_f32_16x16x32_fp8_fp8 v[8:11], a[82:83], a[10:11], v[8:11]// 00000000379C: D3F30008 1C221552
	buffer_load_dwordx4 a[72:75], v55, s[84:87], 0 offen       // 0000000037A4: E05C1000 80954837
	v_mfma_f32_16x16x32_fp8_fp8 v[8:11], a[84:85], a[12:13], v[8:11]// 0000000037AC: D3F30008 1C221954
	v_mfma_f32_16x16x32_fp8_fp8 v[8:11], a[86:87], a[14:15], v[8:11]// 0000000037B4: D3F30008 1C221D56
	ds_read_b128 a[48:51], v2 offset:9344                      // 0000000037BC: DBFE2480 30000002
	ds_read_b128 a[52:55], v2 offset:9408                      // 0000000037C4: DBFE24C0 34000002
	v_fma_f32 v104, v12, v4, v104                              // 0000000037CC: D1CB0068 05A2090C
	v_fma_f32 v105, v13, v4, v105                              // 0000000037D4: D1CB0069 05A6090D
	v_fma_f32 v106, v14, v4, v106                              // 0000000037DC: D1CB006A 05AA090E
	v_fma_f32 v107, v15, v4, v107                              // 0000000037E4: D1CB006B 05AE090F
	v_mfma_f32_16x16x32_fp8_fp8 v[12:15], a[88:89], a[8:9], 0  // 0000000037EC: D3F3000C 1A021158
	v_mfma_f32_16x16x32_fp8_fp8 v[12:15], a[90:91], a[10:11], v[12:15]// 0000000037F4: D3F3000C 1C32155A
	buffer_load_dwordx4 a[76:79], v55, s[84:87], 0 offen offset:1024// 0000000037FC: E05C1400 80954C37
	v_mfma_f32_16x16x32_fp8_fp8 v[12:15], a[92:93], a[12:13], v[12:15]// 000000003804: D3F3000C 1C32195C
	v_mfma_f32_16x16x32_fp8_fp8 v[12:15], a[94:95], a[14:15], v[12:15]// 00000000380C: D3F3000C 1C321D5E
	ds_read_b128 a[56:59], v2 offset:9856                      // 000000003814: DBFE2680 38000002
	ds_read_b128 a[60:63], v2 offset:9920                      // 00000000381C: DBFE26C0 3C000002
	v_fma_f32 v92, v8, v6, v92                                 // 000000003824: D1CB005C 05720D08
	v_fma_f32 v93, v9, v6, v93                                 // 00000000382C: D1CB005D 05760D09
	v_fma_f32 v94, v10, v6, v94                                // 000000003834: D1CB005E 057A0D0A
	v_fma_f32 v95, v11, v6, v95                                // 00000000383C: D1CB005F 057E0D0B
	v_mul_f32_dpp v4, v27, v36 row_newbcast:0 row_mask:0xf bank_mask:0xf// 000000003844: 0A0848FA FF01501B
	v_mfma_f32_16x16x32_fp8_fp8 v[8:11], a[80:81], a[16:17], 0 // 00000000384C: D3F30008 1A022150
	v_mfma_f32_16x16x32_fp8_fp8 v[8:11], a[82:83], a[18:19], v[8:11]// 000000003854: D3F30008 1C222552
	v_mfma_f32_16x16x32_fp8_fp8 v[8:11], a[84:85], a[20:21], v[8:11]// 00000000385C: D3F30008 1C222954
	v_mfma_f32_16x16x32_fp8_fp8 v[8:11], a[86:87], a[22:23], v[8:11]// 000000003864: D3F30008 1C222D56
	v_fma_f32 v108, v12, v6, v108                              // 00000000386C: D1CB006C 05B20D0C
	v_fma_f32 v109, v13, v6, v109                              // 000000003874: D1CB006D 05B60D0D
	v_fma_f32 v110, v14, v6, v110                              // 00000000387C: D1CB006E 05BA0D0E
	v_fma_f32 v111, v15, v6, v111                              // 000000003884: D1CB006F 05BE0D0F
	v_mfma_f32_16x16x32_fp8_fp8 v[12:15], a[88:89], a[16:17], 0// 00000000388C: D3F3000C 1A022158
	v_mfma_f32_16x16x32_fp8_fp8 v[12:15], a[90:91], a[18:19], v[12:15]// 000000003894: D3F3000C 1C32255A
	v_mfma_f32_16x16x32_fp8_fp8 v[12:15], a[92:93], a[20:21], v[12:15]// 00000000389C: D3F3000C 1C32295C
	v_mfma_f32_16x16x32_fp8_fp8 v[12:15], a[94:95], a[22:23], v[12:15]// 0000000038A4: D3F3000C 1C322D5E
	v_fma_f32 v96, v8, v4, v96                                 // 0000000038AC: D1CB0060 05820908
	v_fma_f32 v97, v9, v4, v97                                 // 0000000038B4: D1CB0061 05860909
	v_fma_f32 v98, v10, v4, v98                                // 0000000038BC: D1CB0062 058A090A
	v_fma_f32 v99, v11, v4, v99                                // 0000000038C4: D1CB0063 058E090B
	v_mul_f32_dpp v6, v27, v37 row_newbcast:0 row_mask:0xf bank_mask:0xf// 0000000038CC: 0A0C4AFA FF01501B
	v_mfma_f32_16x16x32_fp8_fp8 v[8:11], a[80:81], a[24:25], 0 // 0000000038D4: D3F30008 1A023150
	s_add_u32 s60, 0x180, s80                                  // 0000000038DC: 803C50FF 00000180
	s_cmp_lt_u32 s60, s81                                      // 0000000038E4: BF0A513C
	s_cselect_b32 s57, s57, 0                                  // 0000000038E8: 85398039
	s_cselect_b32 s3, s3, 0                                    // 0000000038EC: 85038003
	v_mfma_f32_16x16x32_fp8_fp8 v[8:11], a[82:83], a[26:27], v[8:11]// 0000000038F0: D3F30008 1C223552
	s_add_u32 s60, 0x100, s80                                  // 0000000038F8: 803C50FF 00000100
	s_cmp_lt_u32 s60, s81                                      // 000000003900: BF0A513C
	s_cselect_b32 s58, s58, 0                                  // 000000003904: 853A803A
	v_mfma_f32_16x16x32_fp8_fp8 v[8:11], a[84:85], a[28:29], v[8:11]// 000000003908: D3F30008 1C223954
	s_add_u32 s60, 0x100, s80                                  // 000000003910: 803C50FF 00000100
	s_cmp_lt_u32 s60, s81                                      // 000000003918: BF0A513C
	s_cselect_b32 s83, s83, 0                                  // 00000000391C: 85538053
	s_cselect_b32 s4, s4, 0                                    // 000000003920: 85048004
	v_mfma_f32_16x16x32_fp8_fp8 v[8:11], a[86:87], a[30:31], v[8:11]// 000000003924: D3F30008 1C223D56
	s_add_u32 s24, s58, s24                                    // 00000000392C: 8018183A
	s_addc_u32 s25, 0, s25                                     // 000000003930: 82191980
	v_fma_f32 v112, v12, v4, v112                              // 000000003934: D1CB0070 05C2090C
	v_fma_f32 v113, v13, v4, v113                              // 00000000393C: D1CB0071 05C6090D
	v_fma_f32 v114, v14, v4, v114                              // 000000003944: D1CB0072 05CA090E
	v_fma_f32 v115, v15, v4, v115                              // 00000000394C: D1CB0073 05CE090F
	v_mfma_f32_16x16x32_fp8_fp8 v[12:15], a[88:89], a[24:25], 0// 000000003954: D3F3000C 1A023158
	s_add_u32 s20, s57, s20                                    // 00000000395C: 80141439
	s_addc_u32 s21, 0, s21                                     // 000000003960: 82151580
	s_add_u32 s28, s3, s28                                     // 000000003964: 801C1C03
	s_addc_u32 s29, 0, s29                                     // 000000003968: 821D1D80
	v_mfma_f32_16x16x32_fp8_fp8 v[12:15], a[90:91], a[26:27], v[12:15]// 00000000396C: D3F3000C 1C32355A
	s_add_u32 s84, s83, s84                                    // 000000003974: 80545453
	s_addc_u32 s85, 0, s85                                     // 000000003978: 82555580
	v_mfma_f32_16x16x32_fp8_fp8 v[12:15], a[92:93], a[28:29], v[12:15]// 00000000397C: D3F3000C 1C32395C
	s_add_u32 s32, s4, s32                                     // 000000003984: 80202004
	s_addc_u32 s33, 0, s33                                     // 000000003988: 82212180
	v_mfma_f32_16x16x32_fp8_fp8 v[12:15], a[94:95], a[30:31], v[12:15]// 00000000398C: D3F3000C 1C323D5E
	v_fma_f32 v100, v8, v6, v100                               // 000000003994: D1CB0064 05920D08
	v_fma_f32 v101, v9, v6, v101                               // 00000000399C: D1CB0065 05960D09
	v_fma_f32 v102, v10, v6, v102                              // 0000000039A4: D1CB0066 059A0D0A
	v_fma_f32 v103, v11, v6, v103                              // 0000000039AC: D1CB0067 059E0D0B
	v_fma_f32 v116, v12, v6, v116                              // 0000000039B4: D1CB0074 05D20D0C
	v_fma_f32 v117, v13, v6, v117                              // 0000000039BC: D1CB0075 05D60D0D
	v_fma_f32 v118, v14, v6, v118                              // 0000000039C4: D1CB0076 05DA0D0E
	v_fma_f32 v119, v15, v6, v119                              // 0000000039CC: D1CB0077 05DE0D0F
	s_addk_i32 s80, 0x80                                       // 0000000039D4: B7500080
	s_cmp_lt_i32 s80, s81                                      // 0000000039D8: BF045150
	s_cbranch_scc0 label_0B56                                  // 0000000039DC: BF84075E
	s_waitcnt vmcnt(17) lgkmcnt(0)                             // 0000000039E0: BF8C4071
	v_mul_f32_dpp v4, v25, v38 row_newbcast:0 row_mask:0xf bank_mask:0xf// 0000000039E4: 0A084CFA FF015019
	v_mfma_f32_16x16x32_fp8_fp8 v[8:11], a[96:97], a[32:33], 0 // 0000000039EC: D3F30008 1A024160
	buffer_load_dword v26, v22, s[32:35], 0 offen              // 0000000039F4: E0501000 80081A16
	v_mfma_f32_16x16x32_fp8_fp8 v[8:11], a[98:99], a[34:35], v[8:11]// 0000000039FC: D3F30008 1C224562
	buffer_load_dwordx4 a[80:83], v54, s[24:27], 0 offen       // 000000003A04: E05C1000 80865036
	v_mfma_f32_16x16x32_fp8_fp8 v[8:11], a[100:101], a[36:37], v[8:11]// 000000003A0C: D3F30008 1C224964
	v_mfma_f32_16x16x32_fp8_fp8 v[8:11], a[102:103], a[38:39], v[8:11]// 000000003A14: D3F30008 1C224D66
	v_mfma_f32_16x16x32_fp8_fp8 v[12:15], a[104:105], a[32:33], 0// 000000003A1C: D3F3000C 1A024168
	v_mfma_f32_16x16x32_fp8_fp8 v[12:15], a[106:107], a[34:35], v[12:15]// 000000003A24: D3F3000C 1C32456A
	buffer_load_dwordx4 a[84:87], v54, s[24:27], 0 offen offset:1024// 000000003A2C: E05C1400 80865436
	v_mfma_f32_16x16x32_fp8_fp8 v[12:15], a[108:109], a[36:37], v[12:15]// 000000003A34: D3F3000C 1C32496C
	v_mfma_f32_16x16x32_fp8_fp8 v[12:15], a[110:111], a[38:39], v[12:15]// 000000003A3C: D3F3000C 1C324D6E
	v_fma_f32 v56, v8, v4, v56                                 // 000000003A44: D1CB0038 04E20908
	v_fma_f32 v57, v9, v4, v57                                 // 000000003A4C: D1CB0039 04E60909
	v_fma_f32 v58, v10, v4, v58                                // 000000003A54: D1CB003A 04EA090A
	v_fma_f32 v59, v11, v4, v59                                // 000000003A5C: D1CB003B 04EE090B
	v_mul_f32_dpp v6, v25, v39 row_newbcast:0 row_mask:0xf bank_mask:0xf// 000000003A64: 0A0C4EFA FF015019
	v_mfma_f32_16x16x32_fp8_fp8 v[8:11], a[96:97], a[40:41], 0 // 000000003A6C: D3F30008 1A025160
	v_mfma_f32_16x16x32_fp8_fp8 v[8:11], a[98:99], a[42:43], v[8:11]// 000000003A74: D3F30008 1C225562
	buffer_load_dwordx4 a[88:91], v55, s[24:27], 0 offen       // 000000003A7C: E05C1000 80865837
	v_mfma_f32_16x16x32_fp8_fp8 v[8:11], a[100:101], a[44:45], v[8:11]// 000000003A84: D3F30008 1C225964
	v_mfma_f32_16x16x32_fp8_fp8 v[8:11], a[102:103], a[46:47], v[8:11]// 000000003A8C: D3F30008 1C225D66
	v_fma_f32 v72, v12, v4, v72                                // 000000003A94: D1CB0048 0522090C
	v_fma_f32 v73, v13, v4, v73                                // 000000003A9C: D1CB0049 0526090D
	v_fma_f32 v74, v14, v4, v74                                // 000000003AA4: D1CB004A 052A090E
	v_fma_f32 v75, v15, v4, v75                                // 000000003AAC: D1CB004B 052E090F
	v_mfma_f32_16x16x32_fp8_fp8 v[12:15], a[104:105], a[40:41], 0// 000000003AB4: D3F3000C 1A025168
	v_mfma_f32_16x16x32_fp8_fp8 v[12:15], a[106:107], a[42:43], v[12:15]// 000000003ABC: D3F3000C 1C32556A
	buffer_load_dwordx4 a[92:95], v55, s[24:27], 0 offen offset:1024// 000000003AC4: E05C1400 80865C37
	buffer_load_dword v46, s[20:23], 0 offen lds               // 000000003ACC: E0511000 8005002E
	s_add_u32 m0, 0x100, s48                                   // 000000003AD4: 807C30FF 00000100
	v_mfma_f32_16x16x32_fp8_fp8 v[12:15], a[108:109], a[44:45], v[12:15]// 000000003ADC: D3F3000C 1C32596C
	v_mfma_f32_16x16x32_fp8_fp8 v[12:15], a[110:111], a[46:47], v[12:15]// 000000003AE4: D3F3000C 1C325D6E
	buffer_load_dword v47, s[20:23], 0 offen lds               // 000000003AEC: E0511000 8005002F
	s_add_u32 m0, 0x200, s48                                   // 000000003AF4: 807C30FF 00000200
	v_fma_f32 v60, v8, v6, v60                                 // 000000003AFC: D1CB003C 04F20D08
	v_fma_f32 v61, v9, v6, v61                                 // 000000003B04: D1CB003D 04F60D09
	v_fma_f32 v62, v10, v6, v62                                // 000000003B0C: D1CB003E 04FA0D0A
	v_fma_f32 v63, v11, v6, v63                                // 000000003B14: D1CB003F 04FE0D0B
	v_mul_f32_dpp v4, v25, v40 row_newbcast:0 row_mask:0xf bank_mask:0xf// 000000003B1C: 0A0850FA FF015019
	v_mfma_f32_16x16x32_fp8_fp8 v[8:11], a[96:97], a[48:49], 0 // 000000003B24: D3F30008 1A026160
	v_mfma_f32_16x16x32_fp8_fp8 v[8:11], a[98:99], a[50:51], v[8:11]// 000000003B2C: D3F30008 1C226562
	buffer_load_dword v48, s[20:23], 0 offen lds               // 000000003B34: E0511000 80050030
	s_add_u32 m0, 0x300, s48                                   // 000000003B3C: 807C30FF 00000300
	v_mfma_f32_16x16x32_fp8_fp8 v[8:11], a[100:101], a[52:53], v[8:11]// 000000003B44: D3F30008 1C226964
	v_mfma_f32_16x16x32_fp8_fp8 v[8:11], a[102:103], a[54:55], v[8:11]// 000000003B4C: D3F30008 1C226D66
	buffer_load_dword v49, s[20:23], 0 offen lds               // 000000003B54: E0511000 80050031
	s_add_u32 m0, 0x400, s48                                   // 000000003B5C: 807C30FF 00000400
	v_fma_f32 v76, v12, v6, v76                                // 000000003B64: D1CB004C 05320D0C
	v_fma_f32 v77, v13, v6, v77                                // 000000003B6C: D1CB004D 05360D0D
	v_fma_f32 v78, v14, v6, v78                                // 000000003B74: D1CB004E 053A0D0E
	v_fma_f32 v79, v15, v6, v79                                // 000000003B7C: D1CB004F 053E0D0F
	v_mfma_f32_16x16x32_fp8_fp8 v[12:15], a[104:105], a[48:49], 0// 000000003B84: D3F3000C 1A026168
	v_mfma_f32_16x16x32_fp8_fp8 v[12:15], a[106:107], a[50:51], v[12:15]// 000000003B8C: D3F3000C 1C32656A
	buffer_load_dword v50, s[20:23], 0 offen lds               // 000000003B94: E0511000 80050032
	s_add_u32 m0, 0x500, s48                                   // 000000003B9C: 807C30FF 00000500
	v_mfma_f32_16x16x32_fp8_fp8 v[12:15], a[108:109], a[52:53], v[12:15]// 000000003BA4: D3F3000C 1C32696C
	v_mfma_f32_16x16x32_fp8_fp8 v[12:15], a[110:111], a[54:55], v[12:15]// 000000003BAC: D3F3000C 1C326D6E
	buffer_load_dword v51, s[20:23], 0 offen lds               // 000000003BB4: E0511000 80050033
	s_add_u32 m0, 0x600, s48                                   // 000000003BBC: 807C30FF 00000600
	v_fma_f32 v64, v8, v4, v64                                 // 000000003BC4: D1CB0040 05020908
	v_fma_f32 v65, v9, v4, v65                                 // 000000003BCC: D1CB0041 05060909
	v_fma_f32 v66, v10, v4, v66                                // 000000003BD4: D1CB0042 050A090A
	v_fma_f32 v67, v11, v4, v67                                // 000000003BDC: D1CB0043 050E090B
	v_mul_f32_dpp v6, v25, v41 row_newbcast:0 row_mask:0xf bank_mask:0xf// 000000003BE4: 0A0C52FA FF015019
	v_mfma_f32_16x16x32_fp8_fp8 v[8:11], a[96:97], a[56:57], 0 // 000000003BEC: D3F30008 1A027160
	v_mfma_f32_16x16x32_fp8_fp8 v[8:11], a[98:99], a[58:59], v[8:11]// 000000003BF4: D3F30008 1C227562
	buffer_load_dword v52, s[20:23], 0 offen lds               // 000000003BFC: E0511000 80050034
	s_add_u32 m0, 0x700, s48                                   // 000000003C04: 807C30FF 00000700
	v_mfma_f32_16x16x32_fp8_fp8 v[8:11], a[100:101], a[60:61], v[8:11]// 000000003C0C: D3F30008 1C227964
	v_mfma_f32_16x16x32_fp8_fp8 v[8:11], a[102:103], a[62:63], v[8:11]// 000000003C14: D3F30008 1C227D66
	buffer_load_dword v53, s[20:23], 0 offen lds               // 000000003C1C: E0511000 80050035
	s_add_u32 m0, 0, s49                                       // 000000003C24: 807C3180
	v_fma_f32 v80, v12, v4, v80                                // 000000003C28: D1CB0050 0542090C
	v_fma_f32 v81, v13, v4, v81                                // 000000003C30: D1CB0051 0546090D
	v_fma_f32 v82, v14, v4, v82                                // 000000003C38: D1CB0052 054A090E
	v_fma_f32 v83, v15, v4, v83                                // 000000003C40: D1CB0053 054E090F
	v_mfma_f32_16x16x32_fp8_fp8 v[12:15], a[104:105], a[56:57], 0// 000000003C48: D3F3000C 1A027168
	v_mfma_f32_16x16x32_fp8_fp8 v[12:15], a[106:107], a[58:59], v[12:15]// 000000003C50: D3F3000C 1C32756A
	buffer_load_dword v34, v30, s[28:31], 0 offen              // 000000003C58: E0501000 8007221E
	v_mfma_f32_16x16x32_fp8_fp8 v[12:15], a[108:109], a[60:61], v[12:15]// 000000003C60: D3F3000C 1C32796C
	v_mfma_f32_16x16x32_fp8_fp8 v[12:15], a[110:111], a[62:63], v[12:15]// 000000003C68: D3F3000C 1C327D6E
	buffer_load_dword v35, v31, s[28:31], 0 offen              // 000000003C70: E0501000 8007231F
	v_fma_f32 v68, v8, v6, v68                                 // 000000003C78: D1CB0044 05120D08
	v_fma_f32 v69, v9, v6, v69                                 // 000000003C80: D1CB0045 05160D09
	v_fma_f32 v70, v10, v6, v70                                // 000000003C88: D1CB0046 051A0D0A
	v_fma_f32 v71, v11, v6, v71                                // 000000003C90: D1CB0047 051E0D0B
	v_fma_f32 v84, v12, v6, v84                                // 000000003C98: D1CB0054 05520D0C
	v_fma_f32 v85, v13, v6, v85                                // 000000003CA0: D1CB0055 05560D0D
	v_fma_f32 v86, v14, v6, v86                                // 000000003CA8: D1CB0056 055A0D0E
	v_fma_f32 v87, v15, v6, v87                                // 000000003CB0: D1CB0057 055E0D0F
	buffer_load_dword v36, v32, s[28:31], 0 offen              // 000000003CB8: E0501000 80072420
	buffer_load_dword v37, v33, s[28:31], 0 offen              // 000000003CC0: E0501000 80072521
	s_waitcnt vmcnt(17)                                        // 000000003CC8: BF8C4F71
	s_barrier                                                  // 000000003CCC: BF8A0000
	v_mul_f32_dpp v4, v28, v38 row_newbcast:0 row_mask:0xf bank_mask:0xf// 000000003CD0: 0A084CFA FF01501C
	v_mfma_f32_16x16x32_fp8_fp8 v[8:11], a[64:65], a[32:33], 0 // 000000003CD8: D3F30008 1A024140
	buffer_load_dword v29, v23, s[32:35], 0 offen              // 000000003CE0: E0501000 80081D17
	v_mfma_f32_16x16x32_fp8_fp8 v[8:11], a[66:67], a[34:35], v[8:11]// 000000003CE8: D3F30008 1C224542
	buffer_load_dwordx4 a[96:99], v54, s[84:87], 0 offen       // 000000003CF0: E05C1000 80956036
	v_mfma_f32_16x16x32_fp8_fp8 v[8:11], a[68:69], a[36:37], v[8:11]// 000000003CF8: D3F30008 1C224944
	v_mfma_f32_16x16x32_fp8_fp8 v[8:11], a[70:71], a[38:39], v[8:11]// 000000003D00: D3F30008 1C224D46
	ds_read_b128 a[0:3], v2 offset:16640                       // 000000003D08: DBFE4100 00000002
	ds_read_b128 a[4:7], v2 offset:16704                       // 000000003D10: DBFE4140 04000002
	v_mfma_f32_16x16x32_fp8_fp8 v[12:15], a[72:73], a[32:33], 0// 000000003D18: D3F3000C 1A024148
	v_mfma_f32_16x16x32_fp8_fp8 v[12:15], a[74:75], a[34:35], v[12:15]// 000000003D20: D3F3000C 1C32454A
	buffer_load_dwordx4 a[100:103], v54, s[84:87], 0 offen offset:1024// 000000003D28: E05C1400 80956436
	v_mfma_f32_16x16x32_fp8_fp8 v[12:15], a[76:77], a[36:37], v[12:15]// 000000003D30: D3F3000C 1C32494C
	v_mfma_f32_16x16x32_fp8_fp8 v[12:15], a[78:79], a[38:39], v[12:15]// 000000003D38: D3F3000C 1C324D4E
	ds_read_b128 a[8:11], v2 offset:17152                      // 000000003D40: DBFE4300 08000002
	ds_read_b128 a[12:15], v2 offset:17216                     // 000000003D48: DBFE4340 0C000002
	v_fma_f32 v88, v8, v4, v88                                 // 000000003D50: D1CB0058 05620908
	v_fma_f32 v89, v9, v4, v89                                 // 000000003D58: D1CB0059 05660909
	v_fma_f32 v90, v10, v4, v90                                // 000000003D60: D1CB005A 056A090A
	v_fma_f32 v91, v11, v4, v91                                // 000000003D68: D1CB005B 056E090B
	v_mul_f32_dpp v6, v28, v39 row_newbcast:0 row_mask:0xf bank_mask:0xf// 000000003D70: 0A0C4EFA FF01501C
	v_mfma_f32_16x16x32_fp8_fp8 v[8:11], a[64:65], a[40:41], 0 // 000000003D78: D3F30008 1A025140
	v_mfma_f32_16x16x32_fp8_fp8 v[8:11], a[66:67], a[42:43], v[8:11]// 000000003D80: D3F30008 1C225542
	buffer_load_dwordx4 a[104:107], v55, s[84:87], 0 offen     // 000000003D88: E05C1000 80956837
	v_mfma_f32_16x16x32_fp8_fp8 v[8:11], a[68:69], a[44:45], v[8:11]// 000000003D90: D3F30008 1C225944
	v_mfma_f32_16x16x32_fp8_fp8 v[8:11], a[70:71], a[46:47], v[8:11]// 000000003D98: D3F30008 1C225D46
	ds_read_b128 a[16:19], v2 offset:17664                     // 000000003DA0: DBFE4500 10000002
	ds_read_b128 a[20:23], v2 offset:17728                     // 000000003DA8: DBFE4540 14000002
	v_fma_f32 v104, v12, v4, v104                              // 000000003DB0: D1CB0068 05A2090C
	v_fma_f32 v105, v13, v4, v105                              // 000000003DB8: D1CB0069 05A6090D
	v_fma_f32 v106, v14, v4, v106                              // 000000003DC0: D1CB006A 05AA090E
	v_fma_f32 v107, v15, v4, v107                              // 000000003DC8: D1CB006B 05AE090F
	v_mfma_f32_16x16x32_fp8_fp8 v[12:15], a[72:73], a[40:41], 0// 000000003DD0: D3F3000C 1A025148
	v_mfma_f32_16x16x32_fp8_fp8 v[12:15], a[74:75], a[42:43], v[12:15]// 000000003DD8: D3F3000C 1C32554A
	buffer_load_dwordx4 a[108:111], v55, s[84:87], 0 offen offset:1024// 000000003DE0: E05C1400 80956C37
	v_mfma_f32_16x16x32_fp8_fp8 v[12:15], a[76:77], a[44:45], v[12:15]// 000000003DE8: D3F3000C 1C32594C
	v_mfma_f32_16x16x32_fp8_fp8 v[12:15], a[78:79], a[46:47], v[12:15]// 000000003DF0: D3F3000C 1C325D4E
	ds_read_b128 a[24:27], v2 offset:18176                     // 000000003DF8: DBFE4700 18000002
	ds_read_b128 a[28:31], v2 offset:18240                     // 000000003E00: DBFE4740 1C000002
	v_fma_f32 v92, v8, v6, v92                                 // 000000003E08: D1CB005C 05720D08
	v_fma_f32 v93, v9, v6, v93                                 // 000000003E10: D1CB005D 05760D09
	v_fma_f32 v94, v10, v6, v94                                // 000000003E18: D1CB005E 057A0D0A
	v_fma_f32 v95, v11, v6, v95                                // 000000003E20: D1CB005F 057E0D0B
	v_mul_f32_dpp v4, v28, v40 row_newbcast:0 row_mask:0xf bank_mask:0xf// 000000003E28: 0A0850FA FF01501C
	v_mfma_f32_16x16x32_fp8_fp8 v[8:11], a[64:65], a[48:49], 0 // 000000003E30: D3F30008 1A026140
	v_mfma_f32_16x16x32_fp8_fp8 v[8:11], a[66:67], a[50:51], v[8:11]// 000000003E38: D3F30008 1C226542
	v_mfma_f32_16x16x32_fp8_fp8 v[8:11], a[68:69], a[52:53], v[8:11]// 000000003E40: D3F30008 1C226944
	v_mfma_f32_16x16x32_fp8_fp8 v[8:11], a[70:71], a[54:55], v[8:11]// 000000003E48: D3F30008 1C226D46
	v_fma_f32 v108, v12, v6, v108                              // 000000003E50: D1CB006C 05B20D0C
	v_fma_f32 v109, v13, v6, v109                              // 000000003E58: D1CB006D 05B60D0D
	v_fma_f32 v110, v14, v6, v110                              // 000000003E60: D1CB006E 05BA0D0E
	v_fma_f32 v111, v15, v6, v111                              // 000000003E68: D1CB006F 05BE0D0F
	v_mfma_f32_16x16x32_fp8_fp8 v[12:15], a[72:73], a[48:49], 0// 000000003E70: D3F3000C 1A026148
	v_mfma_f32_16x16x32_fp8_fp8 v[12:15], a[74:75], a[50:51], v[12:15]// 000000003E78: D3F3000C 1C32654A
	v_mfma_f32_16x16x32_fp8_fp8 v[12:15], a[76:77], a[52:53], v[12:15]// 000000003E80: D3F3000C 1C32694C
	v_mfma_f32_16x16x32_fp8_fp8 v[12:15], a[78:79], a[54:55], v[12:15]// 000000003E88: D3F3000C 1C326D4E
	v_fma_f32 v96, v8, v4, v96                                 // 000000003E90: D1CB0060 05820908
	v_fma_f32 v97, v9, v4, v97                                 // 000000003E98: D1CB0061 05860909
	v_fma_f32 v98, v10, v4, v98                                // 000000003EA0: D1CB0062 058A090A
	v_fma_f32 v99, v11, v4, v99                                // 000000003EA8: D1CB0063 058E090B
	v_mul_f32_dpp v6, v28, v41 row_newbcast:0 row_mask:0xf bank_mask:0xf// 000000003EB0: 0A0C52FA FF01501C
	v_mfma_f32_16x16x32_fp8_fp8 v[8:11], a[64:65], a[56:57], 0 // 000000003EB8: D3F30008 1A027140
	s_add_u32 s60, 0x180, s80                                  // 000000003EC0: 803C50FF 00000180
	s_cmp_lt_u32 s60, s81                                      // 000000003EC8: BF0A513C
	s_cselect_b32 s57, s57, 0                                  // 000000003ECC: 85398039
	s_cselect_b32 s3, s3, 0                                    // 000000003ED0: 85038003
	v_mfma_f32_16x16x32_fp8_fp8 v[8:11], a[66:67], a[58:59], v[8:11]// 000000003ED4: D3F30008 1C227542
	s_add_u32 s60, 0x100, s80                                  // 000000003EDC: 803C50FF 00000100
	s_cmp_lt_u32 s60, s81                                      // 000000003EE4: BF0A513C
	s_cselect_b32 s58, s58, 0                                  // 000000003EE8: 853A803A
	v_mfma_f32_16x16x32_fp8_fp8 v[8:11], a[68:69], a[60:61], v[8:11]// 000000003EEC: D3F30008 1C227944
	s_add_u32 s60, 0x100, s80                                  // 000000003EF4: 803C50FF 00000100
	s_cmp_lt_u32 s60, s81                                      // 000000003EFC: BF0A513C
	s_cselect_b32 s83, s83, 0                                  // 000000003F00: 85538053
	s_cselect_b32 s4, s4, 0                                    // 000000003F04: 85048004
	v_mfma_f32_16x16x32_fp8_fp8 v[8:11], a[70:71], a[62:63], v[8:11]// 000000003F08: D3F30008 1C227D46
	s_add_u32 s24, s58, s24                                    // 000000003F10: 8018183A
	s_addc_u32 s25, 0, s25                                     // 000000003F14: 82191980
	v_fma_f32 v112, v12, v4, v112                              // 000000003F18: D1CB0070 05C2090C
	v_fma_f32 v113, v13, v4, v113                              // 000000003F20: D1CB0071 05C6090D
	v_fma_f32 v114, v14, v4, v114                              // 000000003F28: D1CB0072 05CA090E
	v_fma_f32 v115, v15, v4, v115                              // 000000003F30: D1CB0073 05CE090F
	v_mfma_f32_16x16x32_fp8_fp8 v[12:15], a[72:73], a[56:57], 0// 000000003F38: D3F3000C 1A027148
	s_add_u32 s20, s57, s20                                    // 000000003F40: 80141439
	s_addc_u32 s21, 0, s21                                     // 000000003F44: 82151580
	s_add_u32 s28, s3, s28                                     // 000000003F48: 801C1C03
	s_addc_u32 s29, 0, s29                                     // 000000003F4C: 821D1D80
	v_mfma_f32_16x16x32_fp8_fp8 v[12:15], a[74:75], a[58:59], v[12:15]// 000000003F50: D3F3000C 1C32754A
	s_add_u32 s84, s83, s84                                    // 000000003F58: 80545453
	s_addc_u32 s85, 0, s85                                     // 000000003F5C: 82555580
	v_mfma_f32_16x16x32_fp8_fp8 v[12:15], a[76:77], a[60:61], v[12:15]// 000000003F60: D3F3000C 1C32794C
	s_add_u32 s32, s4, s32                                     // 000000003F68: 80202004
	s_addc_u32 s33, 0, s33                                     // 000000003F6C: 82212180
	v_mfma_f32_16x16x32_fp8_fp8 v[12:15], a[78:79], a[62:63], v[12:15]// 000000003F70: D3F3000C 1C327D4E
	v_fma_f32 v100, v8, v6, v100                               // 000000003F78: D1CB0064 05920D08
	v_fma_f32 v101, v9, v6, v101                               // 000000003F80: D1CB0065 05960D09
	v_fma_f32 v102, v10, v6, v102                              // 000000003F88: D1CB0066 059A0D0A
	v_fma_f32 v103, v11, v6, v103                              // 000000003F90: D1CB0067 059E0D0B
	v_fma_f32 v116, v12, v6, v116                              // 000000003F98: D1CB0074 05D20D0C
	v_fma_f32 v117, v13, v6, v117                              // 000000003FA0: D1CB0075 05D60D0D
	v_fma_f32 v118, v14, v6, v118                              // 000000003FA8: D1CB0076 05DA0D0E
	v_fma_f32 v119, v15, v6, v119                              // 000000003FB0: D1CB0077 05DE0D0F
	s_addk_i32 s80, 0x80                                       // 000000003FB8: B7500080
	s_cmp_lt_i32 s80, s81                                      // 000000003FBC: BF045150
	s_cbranch_scc0 label_0B56                                  // 000000003FC0: BF8405E5
	s_waitcnt vmcnt(17) lgkmcnt(0)                             // 000000003FC4: BF8C4071
	v_mul_f32_dpp v4, v26, v42 row_newbcast:0 row_mask:0xf bank_mask:0xf// 000000003FC8: 0A0854FA FF01501A
	v_mfma_f32_16x16x32_fp8_fp8 v[8:11], a[80:81], a[0:1], 0   // 000000003FD0: D3F30008 1A020150
	buffer_load_dword v24, v22, s[32:35], 0 offen              // 000000003FD8: E0501000 80081816
	v_mfma_f32_16x16x32_fp8_fp8 v[8:11], a[82:83], a[2:3], v[8:11]// 000000003FE0: D3F30008 1C220552
	buffer_load_dwordx4 a[64:67], v54, s[24:27], 0 offen       // 000000003FE8: E05C1000 80864036
	v_mfma_f32_16x16x32_fp8_fp8 v[8:11], a[84:85], a[4:5], v[8:11]// 000000003FF0: D3F30008 1C220954
	v_mfma_f32_16x16x32_fp8_fp8 v[8:11], a[86:87], a[6:7], v[8:11]// 000000003FF8: D3F30008 1C220D56
	v_mfma_f32_16x16x32_fp8_fp8 v[12:15], a[88:89], a[0:1], 0  // 000000004000: D3F3000C 1A020158
	v_mfma_f32_16x16x32_fp8_fp8 v[12:15], a[90:91], a[2:3], v[12:15]// 000000004008: D3F3000C 1C32055A
	buffer_load_dwordx4 a[68:71], v54, s[24:27], 0 offen offset:1024// 000000004010: E05C1400 80864436
	v_mfma_f32_16x16x32_fp8_fp8 v[12:15], a[92:93], a[4:5], v[12:15]// 000000004018: D3F3000C 1C32095C
	v_mfma_f32_16x16x32_fp8_fp8 v[12:15], a[94:95], a[6:7], v[12:15]// 000000004020: D3F3000C 1C320D5E
	v_fma_f32 v56, v8, v4, v56                                 // 000000004028: D1CB0038 04E20908
	v_fma_f32 v57, v9, v4, v57                                 // 000000004030: D1CB0039 04E60909
	v_fma_f32 v58, v10, v4, v58                                // 000000004038: D1CB003A 04EA090A
	v_fma_f32 v59, v11, v4, v59                                // 000000004040: D1CB003B 04EE090B
	v_mul_f32_dpp v6, v26, v43 row_newbcast:0 row_mask:0xf bank_mask:0xf// 000000004048: 0A0C56FA FF01501A
	v_mfma_f32_16x16x32_fp8_fp8 v[8:11], a[80:81], a[8:9], 0   // 000000004050: D3F30008 1A021150
	v_mfma_f32_16x16x32_fp8_fp8 v[8:11], a[82:83], a[10:11], v[8:11]// 000000004058: D3F30008 1C221552
	buffer_load_dwordx4 a[72:75], v55, s[24:27], 0 offen       // 000000004060: E05C1000 80864837
	v_mfma_f32_16x16x32_fp8_fp8 v[8:11], a[84:85], a[12:13], v[8:11]// 000000004068: D3F30008 1C221954
	v_mfma_f32_16x16x32_fp8_fp8 v[8:11], a[86:87], a[14:15], v[8:11]// 000000004070: D3F30008 1C221D56
	v_fma_f32 v72, v12, v4, v72                                // 000000004078: D1CB0048 0522090C
	v_fma_f32 v73, v13, v4, v73                                // 000000004080: D1CB0049 0526090D
	v_fma_f32 v74, v14, v4, v74                                // 000000004088: D1CB004A 052A090E
	v_fma_f32 v75, v15, v4, v75                                // 000000004090: D1CB004B 052E090F
	v_mfma_f32_16x16x32_fp8_fp8 v[12:15], a[88:89], a[8:9], 0  // 000000004098: D3F3000C 1A021158
	v_mfma_f32_16x16x32_fp8_fp8 v[12:15], a[90:91], a[10:11], v[12:15]// 0000000040A0: D3F3000C 1C32155A
	buffer_load_dwordx4 a[76:79], v55, s[24:27], 0 offen offset:1024// 0000000040A8: E05C1400 80864C37
	buffer_load_dword v46, s[20:23], 0 offen lds               // 0000000040B0: E0511000 8005002E
	s_add_u32 m0, 0x100, s49                                   // 0000000040B8: 807C31FF 00000100
	v_mfma_f32_16x16x32_fp8_fp8 v[12:15], a[92:93], a[12:13], v[12:15]// 0000000040C0: D3F3000C 1C32195C
	v_mfma_f32_16x16x32_fp8_fp8 v[12:15], a[94:95], a[14:15], v[12:15]// 0000000040C8: D3F3000C 1C321D5E
	buffer_load_dword v47, s[20:23], 0 offen lds               // 0000000040D0: E0511000 8005002F
	s_add_u32 m0, 0x200, s49                                   // 0000000040D8: 807C31FF 00000200
	v_fma_f32 v60, v8, v6, v60                                 // 0000000040E0: D1CB003C 04F20D08
	v_fma_f32 v61, v9, v6, v61                                 // 0000000040E8: D1CB003D 04F60D09
	v_fma_f32 v62, v10, v6, v62                                // 0000000040F0: D1CB003E 04FA0D0A
	v_fma_f32 v63, v11, v6, v63                                // 0000000040F8: D1CB003F 04FE0D0B
	v_mul_f32_dpp v4, v26, v44 row_newbcast:0 row_mask:0xf bank_mask:0xf// 000000004100: 0A0858FA FF01501A
	v_mfma_f32_16x16x32_fp8_fp8 v[8:11], a[80:81], a[16:17], 0 // 000000004108: D3F30008 1A022150
	v_mfma_f32_16x16x32_fp8_fp8 v[8:11], a[82:83], a[18:19], v[8:11]// 000000004110: D3F30008 1C222552
	buffer_load_dword v48, s[20:23], 0 offen lds               // 000000004118: E0511000 80050030
	s_add_u32 m0, 0x300, s49                                   // 000000004120: 807C31FF 00000300
	v_mfma_f32_16x16x32_fp8_fp8 v[8:11], a[84:85], a[20:21], v[8:11]// 000000004128: D3F30008 1C222954
	v_mfma_f32_16x16x32_fp8_fp8 v[8:11], a[86:87], a[22:23], v[8:11]// 000000004130: D3F30008 1C222D56
	buffer_load_dword v49, s[20:23], 0 offen lds               // 000000004138: E0511000 80050031
	s_add_u32 m0, 0x400, s49                                   // 000000004140: 807C31FF 00000400
	v_fma_f32 v76, v12, v6, v76                                // 000000004148: D1CB004C 05320D0C
	v_fma_f32 v77, v13, v6, v77                                // 000000004150: D1CB004D 05360D0D
	v_fma_f32 v78, v14, v6, v78                                // 000000004158: D1CB004E 053A0D0E
	v_fma_f32 v79, v15, v6, v79                                // 000000004160: D1CB004F 053E0D0F
	v_mfma_f32_16x16x32_fp8_fp8 v[12:15], a[88:89], a[16:17], 0// 000000004168: D3F3000C 1A022158
	v_mfma_f32_16x16x32_fp8_fp8 v[12:15], a[90:91], a[18:19], v[12:15]// 000000004170: D3F3000C 1C32255A
	buffer_load_dword v50, s[20:23], 0 offen lds               // 000000004178: E0511000 80050032
	s_add_u32 m0, 0x500, s49                                   // 000000004180: 807C31FF 00000500
	v_mfma_f32_16x16x32_fp8_fp8 v[12:15], a[92:93], a[20:21], v[12:15]// 000000004188: D3F3000C 1C32295C
	v_mfma_f32_16x16x32_fp8_fp8 v[12:15], a[94:95], a[22:23], v[12:15]// 000000004190: D3F3000C 1C322D5E
	buffer_load_dword v51, s[20:23], 0 offen lds               // 000000004198: E0511000 80050033
	s_add_u32 m0, 0x600, s49                                   // 0000000041A0: 807C31FF 00000600
	v_fma_f32 v64, v8, v4, v64                                 // 0000000041A8: D1CB0040 05020908
	v_fma_f32 v65, v9, v4, v65                                 // 0000000041B0: D1CB0041 05060909
	v_fma_f32 v66, v10, v4, v66                                // 0000000041B8: D1CB0042 050A090A
	v_fma_f32 v67, v11, v4, v67                                // 0000000041C0: D1CB0043 050E090B
	v_mul_f32_dpp v6, v26, v45 row_newbcast:0 row_mask:0xf bank_mask:0xf// 0000000041C8: 0A0C5AFA FF01501A
	v_mfma_f32_16x16x32_fp8_fp8 v[8:11], a[80:81], a[24:25], 0 // 0000000041D0: D3F30008 1A023150
	v_mfma_f32_16x16x32_fp8_fp8 v[8:11], a[82:83], a[26:27], v[8:11]// 0000000041D8: D3F30008 1C223552
	buffer_load_dword v52, s[20:23], 0 offen lds               // 0000000041E0: E0511000 80050034
	s_add_u32 m0, 0x700, s49                                   // 0000000041E8: 807C31FF 00000700
	v_mfma_f32_16x16x32_fp8_fp8 v[8:11], a[84:85], a[28:29], v[8:11]// 0000000041F0: D3F30008 1C223954
	v_mfma_f32_16x16x32_fp8_fp8 v[8:11], a[86:87], a[30:31], v[8:11]// 0000000041F8: D3F30008 1C223D56
	buffer_load_dword v53, s[20:23], 0 offen lds               // 000000004200: E0511000 80050035
	s_add_u32 m0, 0, s50                                       // 000000004208: 807C3280
	v_fma_f32 v80, v12, v4, v80                                // 00000000420C: D1CB0050 0542090C
	v_fma_f32 v81, v13, v4, v81                                // 000000004214: D1CB0051 0546090D
	v_fma_f32 v82, v14, v4, v82                                // 00000000421C: D1CB0052 054A090E
	v_fma_f32 v83, v15, v4, v83                                // 000000004224: D1CB0053 054E090F
	v_mfma_f32_16x16x32_fp8_fp8 v[12:15], a[88:89], a[24:25], 0// 00000000422C: D3F3000C 1A023158
	v_mfma_f32_16x16x32_fp8_fp8 v[12:15], a[90:91], a[26:27], v[12:15]// 000000004234: D3F3000C 1C32355A
	buffer_load_dword v38, v30, s[28:31], 0 offen              // 00000000423C: E0501000 8007261E
	v_mfma_f32_16x16x32_fp8_fp8 v[12:15], a[92:93], a[28:29], v[12:15]// 000000004244: D3F3000C 1C32395C
	v_mfma_f32_16x16x32_fp8_fp8 v[12:15], a[94:95], a[30:31], v[12:15]// 00000000424C: D3F3000C 1C323D5E
	buffer_load_dword v39, v31, s[28:31], 0 offen              // 000000004254: E0501000 8007271F
	v_fma_f32 v68, v8, v6, v68                                 // 00000000425C: D1CB0044 05120D08
	v_fma_f32 v69, v9, v6, v69                                 // 000000004264: D1CB0045 05160D09
	v_fma_f32 v70, v10, v6, v70                                // 00000000426C: D1CB0046 051A0D0A
	v_fma_f32 v71, v11, v6, v71                                // 000000004274: D1CB0047 051E0D0B
	v_fma_f32 v84, v12, v6, v84                                // 00000000427C: D1CB0054 05520D0C
	v_fma_f32 v85, v13, v6, v85                                // 000000004284: D1CB0055 05560D0D
	v_fma_f32 v86, v14, v6, v86                                // 00000000428C: D1CB0056 055A0D0E
	v_fma_f32 v87, v15, v6, v87                                // 000000004294: D1CB0057 055E0D0F
	buffer_load_dword v40, v32, s[28:31], 0 offen              // 00000000429C: E0501000 80072820
	buffer_load_dword v41, v33, s[28:31], 0 offen              // 0000000042A4: E0501000 80072921
	s_waitcnt vmcnt(17)                                        // 0000000042AC: BF8C4F71
	s_barrier                                                  // 0000000042B0: BF8A0000
	v_mul_f32_dpp v4, v29, v42 row_newbcast:0 row_mask:0xf bank_mask:0xf// 0000000042B4: 0A0854FA FF01501D
	v_mfma_f32_16x16x32_fp8_fp8 v[8:11], a[96:97], a[0:1], 0   // 0000000042BC: D3F30008 1A020160
	buffer_load_dword v27, v23, s[32:35], 0 offen              // 0000000042C4: E0501000 80081B17
	v_mfma_f32_16x16x32_fp8_fp8 v[8:11], a[98:99], a[2:3], v[8:11]// 0000000042CC: D3F30008 1C220562
	buffer_load_dwordx4 a[80:83], v54, s[84:87], 0 offen       // 0000000042D4: E05C1000 80955036
	v_mfma_f32_16x16x32_fp8_fp8 v[8:11], a[100:101], a[4:5], v[8:11]// 0000000042DC: D3F30008 1C220964
	v_mfma_f32_16x16x32_fp8_fp8 v[8:11], a[102:103], a[6:7], v[8:11]// 0000000042E4: D3F30008 1C220D66
	ds_read_b128 a[32:35], v2                                  // 0000000042EC: DBFE0000 20000002
	ds_read_b128 a[36:39], v2 offset:64                        // 0000000042F4: DBFE0040 24000002
	v_mfma_f32_16x16x32_fp8_fp8 v[12:15], a[104:105], a[0:1], 0// 0000000042FC: D3F3000C 1A020168
	v_mfma_f32_16x16x32_fp8_fp8 v[12:15], a[106:107], a[2:3], v[12:15]// 000000004304: D3F3000C 1C32056A
	buffer_load_dwordx4 a[84:87], v54, s[84:87], 0 offen offset:1024// 00000000430C: E05C1400 80955436
	v_mfma_f32_16x16x32_fp8_fp8 v[12:15], a[108:109], a[4:5], v[12:15]// 000000004314: D3F3000C 1C32096C
	v_mfma_f32_16x16x32_fp8_fp8 v[12:15], a[110:111], a[6:7], v[12:15]// 00000000431C: D3F3000C 1C320D6E
	ds_read_b128 a[40:43], v2 offset:512                       // 000000004324: DBFE0200 28000002
	ds_read_b128 a[44:47], v2 offset:576                       // 00000000432C: DBFE0240 2C000002
	v_fma_f32 v88, v8, v4, v88                                 // 000000004334: D1CB0058 05620908
	v_fma_f32 v89, v9, v4, v89                                 // 00000000433C: D1CB0059 05660909
	v_fma_f32 v90, v10, v4, v90                                // 000000004344: D1CB005A 056A090A
	v_fma_f32 v91, v11, v4, v91                                // 00000000434C: D1CB005B 056E090B
	v_mul_f32_dpp v6, v29, v43 row_newbcast:0 row_mask:0xf bank_mask:0xf// 000000004354: 0A0C56FA FF01501D
	v_mfma_f32_16x16x32_fp8_fp8 v[8:11], a[96:97], a[8:9], 0   // 00000000435C: D3F30008 1A021160
	v_mfma_f32_16x16x32_fp8_fp8 v[8:11], a[98:99], a[10:11], v[8:11]// 000000004364: D3F30008 1C221562
	buffer_load_dwordx4 a[88:91], v55, s[84:87], 0 offen       // 00000000436C: E05C1000 80955837
	v_mfma_f32_16x16x32_fp8_fp8 v[8:11], a[100:101], a[12:13], v[8:11]// 000000004374: D3F30008 1C221964
	v_mfma_f32_16x16x32_fp8_fp8 v[8:11], a[102:103], a[14:15], v[8:11]// 00000000437C: D3F30008 1C221D66
	ds_read_b128 a[48:51], v2 offset:1024                      // 000000004384: DBFE0400 30000002
	ds_read_b128 a[52:55], v2 offset:1088                      // 00000000438C: DBFE0440 34000002
	v_fma_f32 v104, v12, v4, v104                              // 000000004394: D1CB0068 05A2090C
	v_fma_f32 v105, v13, v4, v105                              // 00000000439C: D1CB0069 05A6090D
	v_fma_f32 v106, v14, v4, v106                              // 0000000043A4: D1CB006A 05AA090E
	v_fma_f32 v107, v15, v4, v107                              // 0000000043AC: D1CB006B 05AE090F
	v_mfma_f32_16x16x32_fp8_fp8 v[12:15], a[104:105], a[8:9], 0// 0000000043B4: D3F3000C 1A021168
	v_mfma_f32_16x16x32_fp8_fp8 v[12:15], a[106:107], a[10:11], v[12:15]// 0000000043BC: D3F3000C 1C32156A
	buffer_load_dwordx4 a[92:95], v55, s[84:87], 0 offen offset:1024// 0000000043C4: E05C1400 80955C37
	v_mfma_f32_16x16x32_fp8_fp8 v[12:15], a[108:109], a[12:13], v[12:15]// 0000000043CC: D3F3000C 1C32196C
	v_mfma_f32_16x16x32_fp8_fp8 v[12:15], a[110:111], a[14:15], v[12:15]// 0000000043D4: D3F3000C 1C321D6E
	ds_read_b128 a[56:59], v2 offset:1536                      // 0000000043DC: DBFE0600 38000002
	ds_read_b128 a[60:63], v2 offset:1600                      // 0000000043E4: DBFE0640 3C000002
	v_fma_f32 v92, v8, v6, v92                                 // 0000000043EC: D1CB005C 05720D08
	v_fma_f32 v93, v9, v6, v93                                 // 0000000043F4: D1CB005D 05760D09
	v_fma_f32 v94, v10, v6, v94                                // 0000000043FC: D1CB005E 057A0D0A
	v_fma_f32 v95, v11, v6, v95                                // 000000004404: D1CB005F 057E0D0B
	v_mul_f32_dpp v4, v29, v44 row_newbcast:0 row_mask:0xf bank_mask:0xf// 00000000440C: 0A0858FA FF01501D
	v_mfma_f32_16x16x32_fp8_fp8 v[8:11], a[96:97], a[16:17], 0 // 000000004414: D3F30008 1A022160
	v_mfma_f32_16x16x32_fp8_fp8 v[8:11], a[98:99], a[18:19], v[8:11]// 00000000441C: D3F30008 1C222562
	v_mfma_f32_16x16x32_fp8_fp8 v[8:11], a[100:101], a[20:21], v[8:11]// 000000004424: D3F30008 1C222964
	v_mfma_f32_16x16x32_fp8_fp8 v[8:11], a[102:103], a[22:23], v[8:11]// 00000000442C: D3F30008 1C222D66
	v_fma_f32 v108, v12, v6, v108                              // 000000004434: D1CB006C 05B20D0C
	v_fma_f32 v109, v13, v6, v109                              // 00000000443C: D1CB006D 05B60D0D
	v_fma_f32 v110, v14, v6, v110                              // 000000004444: D1CB006E 05BA0D0E
	v_fma_f32 v111, v15, v6, v111                              // 00000000444C: D1CB006F 05BE0D0F
	v_mfma_f32_16x16x32_fp8_fp8 v[12:15], a[104:105], a[16:17], 0// 000000004454: D3F3000C 1A022168
	v_mfma_f32_16x16x32_fp8_fp8 v[12:15], a[106:107], a[18:19], v[12:15]// 00000000445C: D3F3000C 1C32256A
	v_mfma_f32_16x16x32_fp8_fp8 v[12:15], a[108:109], a[20:21], v[12:15]// 000000004464: D3F3000C 1C32296C
	v_mfma_f32_16x16x32_fp8_fp8 v[12:15], a[110:111], a[22:23], v[12:15]// 00000000446C: D3F3000C 1C322D6E
	v_fma_f32 v96, v8, v4, v96                                 // 000000004474: D1CB0060 05820908
	v_fma_f32 v97, v9, v4, v97                                 // 00000000447C: D1CB0061 05860909
	v_fma_f32 v98, v10, v4, v98                                // 000000004484: D1CB0062 058A090A
	v_fma_f32 v99, v11, v4, v99                                // 00000000448C: D1CB0063 058E090B
	v_mul_f32_dpp v6, v29, v45 row_newbcast:0 row_mask:0xf bank_mask:0xf// 000000004494: 0A0C5AFA FF01501D
	v_mfma_f32_16x16x32_fp8_fp8 v[8:11], a[96:97], a[24:25], 0 // 00000000449C: D3F30008 1A023160
	s_add_u32 s60, 0x180, s80                                  // 0000000044A4: 803C50FF 00000180
	s_cmp_lt_u32 s60, s81                                      // 0000000044AC: BF0A513C
	s_cselect_b32 s57, s57, 0                                  // 0000000044B0: 85398039
	s_cselect_b32 s3, s3, 0                                    // 0000000044B4: 85038003
	v_mfma_f32_16x16x32_fp8_fp8 v[8:11], a[98:99], a[26:27], v[8:11]// 0000000044B8: D3F30008 1C223562
	s_add_u32 s60, 0x100, s80                                  // 0000000044C0: 803C50FF 00000100
	s_cmp_lt_u32 s60, s81                                      // 0000000044C8: BF0A513C
	s_cselect_b32 s58, s58, 0                                  // 0000000044CC: 853A803A
	v_mfma_f32_16x16x32_fp8_fp8 v[8:11], a[100:101], a[28:29], v[8:11]// 0000000044D0: D3F30008 1C223964
	s_add_u32 s60, 0x100, s80                                  // 0000000044D8: 803C50FF 00000100
	s_cmp_lt_u32 s60, s81                                      // 0000000044E0: BF0A513C
	s_cselect_b32 s83, s83, 0                                  // 0000000044E4: 85538053
	s_cselect_b32 s4, s4, 0                                    // 0000000044E8: 85048004
	v_mfma_f32_16x16x32_fp8_fp8 v[8:11], a[102:103], a[30:31], v[8:11]// 0000000044EC: D3F30008 1C223D66
	s_add_u32 s24, s58, s24                                    // 0000000044F4: 8018183A
	s_addc_u32 s25, 0, s25                                     // 0000000044F8: 82191980
	v_fma_f32 v112, v12, v4, v112                              // 0000000044FC: D1CB0070 05C2090C
	v_fma_f32 v113, v13, v4, v113                              // 000000004504: D1CB0071 05C6090D
	v_fma_f32 v114, v14, v4, v114                              // 00000000450C: D1CB0072 05CA090E
	v_fma_f32 v115, v15, v4, v115                              // 000000004514: D1CB0073 05CE090F
	v_mfma_f32_16x16x32_fp8_fp8 v[12:15], a[104:105], a[24:25], 0// 00000000451C: D3F3000C 1A023168
	s_add_u32 s20, s57, s20                                    // 000000004524: 80141439
	s_addc_u32 s21, 0, s21                                     // 000000004528: 82151580
	s_add_u32 s28, s3, s28                                     // 00000000452C: 801C1C03
	s_addc_u32 s29, 0, s29                                     // 000000004530: 821D1D80
	v_mfma_f32_16x16x32_fp8_fp8 v[12:15], a[106:107], a[26:27], v[12:15]// 000000004534: D3F3000C 1C32356A
	s_add_u32 s84, s83, s84                                    // 00000000453C: 80545453
	s_addc_u32 s85, 0, s85                                     // 000000004540: 82555580
	v_mfma_f32_16x16x32_fp8_fp8 v[12:15], a[108:109], a[28:29], v[12:15]// 000000004544: D3F3000C 1C32396C
	s_add_u32 s32, s4, s32                                     // 00000000454C: 80202004
	s_addc_u32 s33, 0, s33                                     // 000000004550: 82212180
	v_mfma_f32_16x16x32_fp8_fp8 v[12:15], a[110:111], a[30:31], v[12:15]// 000000004554: D3F3000C 1C323D6E
	v_fma_f32 v100, v8, v6, v100                               // 00000000455C: D1CB0064 05920D08
	v_fma_f32 v101, v9, v6, v101                               // 000000004564: D1CB0065 05960D09
	v_fma_f32 v102, v10, v6, v102                              // 00000000456C: D1CB0066 059A0D0A
	v_fma_f32 v103, v11, v6, v103                              // 000000004574: D1CB0067 059E0D0B
	v_fma_f32 v116, v12, v6, v116                              // 00000000457C: D1CB0074 05D20D0C
	v_fma_f32 v117, v13, v6, v117                              // 000000004584: D1CB0075 05D60D0D
	v_fma_f32 v118, v14, v6, v118                              // 00000000458C: D1CB0076 05DA0D0E
	v_fma_f32 v119, v15, v6, v119                              // 000000004594: D1CB0077 05DE0D0F
	s_addk_i32 s80, 0x80                                       // 00000000459C: B7500080
	s_cmp_lt_i32 s80, s81                                      // 0000000045A0: BF045150
	s_cbranch_scc0 label_0B56                                  // 0000000045A4: BF84046C
	s_waitcnt vmcnt(17) lgkmcnt(0)                             // 0000000045A8: BF8C4071
	v_mul_f32_dpp v4, v24, v34 row_newbcast:0 row_mask:0xf bank_mask:0xf// 0000000045AC: 0A0844FA FF015018
	v_mfma_f32_16x16x32_fp8_fp8 v[8:11], a[64:65], a[32:33], 0 // 0000000045B4: D3F30008 1A024140
	buffer_load_dword v25, v22, s[32:35], 0 offen              // 0000000045BC: E0501000 80081916
	v_mfma_f32_16x16x32_fp8_fp8 v[8:11], a[66:67], a[34:35], v[8:11]// 0000000045C4: D3F30008 1C224542
	buffer_load_dwordx4 a[96:99], v54, s[24:27], 0 offen       // 0000000045CC: E05C1000 80866036
	v_mfma_f32_16x16x32_fp8_fp8 v[8:11], a[68:69], a[36:37], v[8:11]// 0000000045D4: D3F30008 1C224944
	v_mfma_f32_16x16x32_fp8_fp8 v[8:11], a[70:71], a[38:39], v[8:11]// 0000000045DC: D3F30008 1C224D46
	v_mfma_f32_16x16x32_fp8_fp8 v[12:15], a[72:73], a[32:33], 0// 0000000045E4: D3F3000C 1A024148
	v_mfma_f32_16x16x32_fp8_fp8 v[12:15], a[74:75], a[34:35], v[12:15]// 0000000045EC: D3F3000C 1C32454A
	buffer_load_dwordx4 a[100:103], v54, s[24:27], 0 offen offset:1024// 0000000045F4: E05C1400 80866436
	v_mfma_f32_16x16x32_fp8_fp8 v[12:15], a[76:77], a[36:37], v[12:15]// 0000000045FC: D3F3000C 1C32494C
	v_mfma_f32_16x16x32_fp8_fp8 v[12:15], a[78:79], a[38:39], v[12:15]// 000000004604: D3F3000C 1C324D4E
	v_fma_f32 v56, v8, v4, v56                                 // 00000000460C: D1CB0038 04E20908
	v_fma_f32 v57, v9, v4, v57                                 // 000000004614: D1CB0039 04E60909
	v_fma_f32 v58, v10, v4, v58                                // 00000000461C: D1CB003A 04EA090A
	v_fma_f32 v59, v11, v4, v59                                // 000000004624: D1CB003B 04EE090B
	v_mul_f32_dpp v6, v24, v35 row_newbcast:0 row_mask:0xf bank_mask:0xf// 00000000462C: 0A0C46FA FF015018
	v_mfma_f32_16x16x32_fp8_fp8 v[8:11], a[64:65], a[40:41], 0 // 000000004634: D3F30008 1A025140
	v_mfma_f32_16x16x32_fp8_fp8 v[8:11], a[66:67], a[42:43], v[8:11]// 00000000463C: D3F30008 1C225542
	buffer_load_dwordx4 a[104:107], v55, s[24:27], 0 offen     // 000000004644: E05C1000 80866837
	v_mfma_f32_16x16x32_fp8_fp8 v[8:11], a[68:69], a[44:45], v[8:11]// 00000000464C: D3F30008 1C225944
	v_mfma_f32_16x16x32_fp8_fp8 v[8:11], a[70:71], a[46:47], v[8:11]// 000000004654: D3F30008 1C225D46
	v_fma_f32 v72, v12, v4, v72                                // 00000000465C: D1CB0048 0522090C
	v_fma_f32 v73, v13, v4, v73                                // 000000004664: D1CB0049 0526090D
	v_fma_f32 v74, v14, v4, v74                                // 00000000466C: D1CB004A 052A090E
	v_fma_f32 v75, v15, v4, v75                                // 000000004674: D1CB004B 052E090F
	v_mfma_f32_16x16x32_fp8_fp8 v[12:15], a[72:73], a[40:41], 0// 00000000467C: D3F3000C 1A025148
	v_mfma_f32_16x16x32_fp8_fp8 v[12:15], a[74:75], a[42:43], v[12:15]// 000000004684: D3F3000C 1C32554A
	buffer_load_dwordx4 a[108:111], v55, s[24:27], 0 offen offset:1024// 00000000468C: E05C1400 80866C37
	buffer_load_dword v46, s[20:23], 0 offen lds               // 000000004694: E0511000 8005002E
	s_add_u32 m0, 0x100, s50                                   // 00000000469C: 807C32FF 00000100
	v_mfma_f32_16x16x32_fp8_fp8 v[12:15], a[76:77], a[44:45], v[12:15]// 0000000046A4: D3F3000C 1C32594C
	v_mfma_f32_16x16x32_fp8_fp8 v[12:15], a[78:79], a[46:47], v[12:15]// 0000000046AC: D3F3000C 1C325D4E
	buffer_load_dword v47, s[20:23], 0 offen lds               // 0000000046B4: E0511000 8005002F
	s_add_u32 m0, 0x200, s50                                   // 0000000046BC: 807C32FF 00000200
	v_fma_f32 v60, v8, v6, v60                                 // 0000000046C4: D1CB003C 04F20D08
	v_fma_f32 v61, v9, v6, v61                                 // 0000000046CC: D1CB003D 04F60D09
	v_fma_f32 v62, v10, v6, v62                                // 0000000046D4: D1CB003E 04FA0D0A
	v_fma_f32 v63, v11, v6, v63                                // 0000000046DC: D1CB003F 04FE0D0B
	v_mul_f32_dpp v4, v24, v36 row_newbcast:0 row_mask:0xf bank_mask:0xf// 0000000046E4: 0A0848FA FF015018
	v_mfma_f32_16x16x32_fp8_fp8 v[8:11], a[64:65], a[48:49], 0 // 0000000046EC: D3F30008 1A026140
	v_mfma_f32_16x16x32_fp8_fp8 v[8:11], a[66:67], a[50:51], v[8:11]// 0000000046F4: D3F30008 1C226542
	buffer_load_dword v48, s[20:23], 0 offen lds               // 0000000046FC: E0511000 80050030
	s_add_u32 m0, 0x300, s50                                   // 000000004704: 807C32FF 00000300
	v_mfma_f32_16x16x32_fp8_fp8 v[8:11], a[68:69], a[52:53], v[8:11]// 00000000470C: D3F30008 1C226944
	v_mfma_f32_16x16x32_fp8_fp8 v[8:11], a[70:71], a[54:55], v[8:11]// 000000004714: D3F30008 1C226D46
	buffer_load_dword v49, s[20:23], 0 offen lds               // 00000000471C: E0511000 80050031
	s_add_u32 m0, 0x400, s50                                   // 000000004724: 807C32FF 00000400
	v_fma_f32 v76, v12, v6, v76                                // 00000000472C: D1CB004C 05320D0C
	v_fma_f32 v77, v13, v6, v77                                // 000000004734: D1CB004D 05360D0D
	v_fma_f32 v78, v14, v6, v78                                // 00000000473C: D1CB004E 053A0D0E
	v_fma_f32 v79, v15, v6, v79                                // 000000004744: D1CB004F 053E0D0F
	v_mfma_f32_16x16x32_fp8_fp8 v[12:15], a[72:73], a[48:49], 0// 00000000474C: D3F3000C 1A026148
	v_mfma_f32_16x16x32_fp8_fp8 v[12:15], a[74:75], a[50:51], v[12:15]// 000000004754: D3F3000C 1C32654A
	buffer_load_dword v50, s[20:23], 0 offen lds               // 00000000475C: E0511000 80050032
	s_add_u32 m0, 0x500, s50                                   // 000000004764: 807C32FF 00000500
	v_mfma_f32_16x16x32_fp8_fp8 v[12:15], a[76:77], a[52:53], v[12:15]// 00000000476C: D3F3000C 1C32694C
	v_mfma_f32_16x16x32_fp8_fp8 v[12:15], a[78:79], a[54:55], v[12:15]// 000000004774: D3F3000C 1C326D4E
	buffer_load_dword v51, s[20:23], 0 offen lds               // 00000000477C: E0511000 80050033
	s_add_u32 m0, 0x600, s50                                   // 000000004784: 807C32FF 00000600
	v_fma_f32 v64, v8, v4, v64                                 // 00000000478C: D1CB0040 05020908
	v_fma_f32 v65, v9, v4, v65                                 // 000000004794: D1CB0041 05060909
	v_fma_f32 v66, v10, v4, v66                                // 00000000479C: D1CB0042 050A090A
	v_fma_f32 v67, v11, v4, v67                                // 0000000047A4: D1CB0043 050E090B
	v_mul_f32_dpp v6, v24, v37 row_newbcast:0 row_mask:0xf bank_mask:0xf// 0000000047AC: 0A0C4AFA FF015018
	v_mfma_f32_16x16x32_fp8_fp8 v[8:11], a[64:65], a[56:57], 0 // 0000000047B4: D3F30008 1A027140
	v_mfma_f32_16x16x32_fp8_fp8 v[8:11], a[66:67], a[58:59], v[8:11]// 0000000047BC: D3F30008 1C227542
	buffer_load_dword v52, s[20:23], 0 offen lds               // 0000000047C4: E0511000 80050034
	s_add_u32 m0, 0x700, s50                                   // 0000000047CC: 807C32FF 00000700
	v_mfma_f32_16x16x32_fp8_fp8 v[8:11], a[68:69], a[60:61], v[8:11]// 0000000047D4: D3F30008 1C227944
	v_mfma_f32_16x16x32_fp8_fp8 v[8:11], a[70:71], a[62:63], v[8:11]// 0000000047DC: D3F30008 1C227D46
	buffer_load_dword v53, s[20:23], 0 offen lds               // 0000000047E4: E0511000 80050035
	s_add_u32 m0, 0, s48                                       // 0000000047EC: 807C3080
	v_fma_f32 v80, v12, v4, v80                                // 0000000047F0: D1CB0050 0542090C
	v_fma_f32 v81, v13, v4, v81                                // 0000000047F8: D1CB0051 0546090D
	v_fma_f32 v82, v14, v4, v82                                // 000000004800: D1CB0052 054A090E
	v_fma_f32 v83, v15, v4, v83                                // 000000004808: D1CB0053 054E090F
	v_mfma_f32_16x16x32_fp8_fp8 v[12:15], a[72:73], a[56:57], 0// 000000004810: D3F3000C 1A027148
	v_mfma_f32_16x16x32_fp8_fp8 v[12:15], a[74:75], a[58:59], v[12:15]// 000000004818: D3F3000C 1C32754A
	buffer_load_dword v42, v30, s[28:31], 0 offen              // 000000004820: E0501000 80072A1E
	v_mfma_f32_16x16x32_fp8_fp8 v[12:15], a[76:77], a[60:61], v[12:15]// 000000004828: D3F3000C 1C32794C
	v_mfma_f32_16x16x32_fp8_fp8 v[12:15], a[78:79], a[62:63], v[12:15]// 000000004830: D3F3000C 1C327D4E
	buffer_load_dword v43, v31, s[28:31], 0 offen              // 000000004838: E0501000 80072B1F
	v_fma_f32 v68, v8, v6, v68                                 // 000000004840: D1CB0044 05120D08
	v_fma_f32 v69, v9, v6, v69                                 // 000000004848: D1CB0045 05160D09
	v_fma_f32 v70, v10, v6, v70                                // 000000004850: D1CB0046 051A0D0A
	v_fma_f32 v71, v11, v6, v71                                // 000000004858: D1CB0047 051E0D0B
	v_fma_f32 v84, v12, v6, v84                                // 000000004860: D1CB0054 05520D0C
	v_fma_f32 v85, v13, v6, v85                                // 000000004868: D1CB0055 05560D0D
	v_fma_f32 v86, v14, v6, v86                                // 000000004870: D1CB0056 055A0D0E
	v_fma_f32 v87, v15, v6, v87                                // 000000004878: D1CB0057 055E0D0F
	buffer_load_dword v44, v32, s[28:31], 0 offen              // 000000004880: E0501000 80072C20
	buffer_load_dword v45, v33, s[28:31], 0 offen              // 000000004888: E0501000 80072D21
	s_waitcnt vmcnt(17)                                        // 000000004890: BF8C4F71
	s_barrier                                                  // 000000004894: BF8A0000
	v_mul_f32_dpp v4, v27, v34 row_newbcast:0 row_mask:0xf bank_mask:0xf// 000000004898: 0A0844FA FF01501B
	v_mfma_f32_16x16x32_fp8_fp8 v[8:11], a[80:81], a[32:33], 0 // 0000000048A0: D3F30008 1A024150
	buffer_load_dword v28, v23, s[32:35], 0 offen              // 0000000048A8: E0501000 80081C17
	v_mfma_f32_16x16x32_fp8_fp8 v[8:11], a[82:83], a[34:35], v[8:11]// 0000000048B0: D3F30008 1C224552
	buffer_load_dwordx4 a[64:67], v54, s[84:87], 0 offen       // 0000000048B8: E05C1000 80954036
	v_mfma_f32_16x16x32_fp8_fp8 v[8:11], a[84:85], a[36:37], v[8:11]// 0000000048C0: D3F30008 1C224954
	v_mfma_f32_16x16x32_fp8_fp8 v[8:11], a[86:87], a[38:39], v[8:11]// 0000000048C8: D3F30008 1C224D56
	ds_read_b128 a[0:3], v2 offset:8320                        // 0000000048D0: DBFE2080 00000002
	ds_read_b128 a[4:7], v2 offset:8384                        // 0000000048D8: DBFE20C0 04000002
	v_mfma_f32_16x16x32_fp8_fp8 v[12:15], a[88:89], a[32:33], 0// 0000000048E0: D3F3000C 1A024158
	v_mfma_f32_16x16x32_fp8_fp8 v[12:15], a[90:91], a[34:35], v[12:15]// 0000000048E8: D3F3000C 1C32455A
	buffer_load_dwordx4 a[68:71], v54, s[84:87], 0 offen offset:1024// 0000000048F0: E05C1400 80954436
	v_mfma_f32_16x16x32_fp8_fp8 v[12:15], a[92:93], a[36:37], v[12:15]// 0000000048F8: D3F3000C 1C32495C
	v_mfma_f32_16x16x32_fp8_fp8 v[12:15], a[94:95], a[38:39], v[12:15]// 000000004900: D3F3000C 1C324D5E
	ds_read_b128 a[8:11], v2 offset:8832                       // 000000004908: DBFE2280 08000002
	ds_read_b128 a[12:15], v2 offset:8896                      // 000000004910: DBFE22C0 0C000002
	v_fma_f32 v88, v8, v4, v88                                 // 000000004918: D1CB0058 05620908
	v_fma_f32 v89, v9, v4, v89                                 // 000000004920: D1CB0059 05660909
	v_fma_f32 v90, v10, v4, v90                                // 000000004928: D1CB005A 056A090A
	v_fma_f32 v91, v11, v4, v91                                // 000000004930: D1CB005B 056E090B
	v_mul_f32_dpp v6, v27, v35 row_newbcast:0 row_mask:0xf bank_mask:0xf// 000000004938: 0A0C46FA FF01501B
	v_mfma_f32_16x16x32_fp8_fp8 v[8:11], a[80:81], a[40:41], 0 // 000000004940: D3F30008 1A025150
	v_mfma_f32_16x16x32_fp8_fp8 v[8:11], a[82:83], a[42:43], v[8:11]// 000000004948: D3F30008 1C225552
	buffer_load_dwordx4 a[72:75], v55, s[84:87], 0 offen       // 000000004950: E05C1000 80954837
	v_mfma_f32_16x16x32_fp8_fp8 v[8:11], a[84:85], a[44:45], v[8:11]// 000000004958: D3F30008 1C225954
	v_mfma_f32_16x16x32_fp8_fp8 v[8:11], a[86:87], a[46:47], v[8:11]// 000000004960: D3F30008 1C225D56
	ds_read_b128 a[16:19], v2 offset:9344                      // 000000004968: DBFE2480 10000002
	ds_read_b128 a[20:23], v2 offset:9408                      // 000000004970: DBFE24C0 14000002
	v_fma_f32 v104, v12, v4, v104                              // 000000004978: D1CB0068 05A2090C
	v_fma_f32 v105, v13, v4, v105                              // 000000004980: D1CB0069 05A6090D
	v_fma_f32 v106, v14, v4, v106                              // 000000004988: D1CB006A 05AA090E
	v_fma_f32 v107, v15, v4, v107                              // 000000004990: D1CB006B 05AE090F
	v_mfma_f32_16x16x32_fp8_fp8 v[12:15], a[88:89], a[40:41], 0// 000000004998: D3F3000C 1A025158
	v_mfma_f32_16x16x32_fp8_fp8 v[12:15], a[90:91], a[42:43], v[12:15]// 0000000049A0: D3F3000C 1C32555A
	buffer_load_dwordx4 a[76:79], v55, s[84:87], 0 offen offset:1024// 0000000049A8: E05C1400 80954C37
	v_mfma_f32_16x16x32_fp8_fp8 v[12:15], a[92:93], a[44:45], v[12:15]// 0000000049B0: D3F3000C 1C32595C
	v_mfma_f32_16x16x32_fp8_fp8 v[12:15], a[94:95], a[46:47], v[12:15]// 0000000049B8: D3F3000C 1C325D5E
	ds_read_b128 a[24:27], v2 offset:9856                      // 0000000049C0: DBFE2680 18000002
	ds_read_b128 a[28:31], v2 offset:9920                      // 0000000049C8: DBFE26C0 1C000002
	v_fma_f32 v92, v8, v6, v92                                 // 0000000049D0: D1CB005C 05720D08
	v_fma_f32 v93, v9, v6, v93                                 // 0000000049D8: D1CB005D 05760D09
	v_fma_f32 v94, v10, v6, v94                                // 0000000049E0: D1CB005E 057A0D0A
	v_fma_f32 v95, v11, v6, v95                                // 0000000049E8: D1CB005F 057E0D0B
	v_mul_f32_dpp v4, v27, v36 row_newbcast:0 row_mask:0xf bank_mask:0xf// 0000000049F0: 0A0848FA FF01501B
	v_mfma_f32_16x16x32_fp8_fp8 v[8:11], a[80:81], a[48:49], 0 // 0000000049F8: D3F30008 1A026150
	v_mfma_f32_16x16x32_fp8_fp8 v[8:11], a[82:83], a[50:51], v[8:11]// 000000004A00: D3F30008 1C226552
	v_mfma_f32_16x16x32_fp8_fp8 v[8:11], a[84:85], a[52:53], v[8:11]// 000000004A08: D3F30008 1C226954
	v_mfma_f32_16x16x32_fp8_fp8 v[8:11], a[86:87], a[54:55], v[8:11]// 000000004A10: D3F30008 1C226D56
	v_fma_f32 v108, v12, v6, v108                              // 000000004A18: D1CB006C 05B20D0C
	v_fma_f32 v109, v13, v6, v109                              // 000000004A20: D1CB006D 05B60D0D
	v_fma_f32 v110, v14, v6, v110                              // 000000004A28: D1CB006E 05BA0D0E
	v_fma_f32 v111, v15, v6, v111                              // 000000004A30: D1CB006F 05BE0D0F
	v_mfma_f32_16x16x32_fp8_fp8 v[12:15], a[88:89], a[48:49], 0// 000000004A38: D3F3000C 1A026158
	v_mfma_f32_16x16x32_fp8_fp8 v[12:15], a[90:91], a[50:51], v[12:15]// 000000004A40: D3F3000C 1C32655A
	v_mfma_f32_16x16x32_fp8_fp8 v[12:15], a[92:93], a[52:53], v[12:15]// 000000004A48: D3F3000C 1C32695C
	v_mfma_f32_16x16x32_fp8_fp8 v[12:15], a[94:95], a[54:55], v[12:15]// 000000004A50: D3F3000C 1C326D5E
	v_fma_f32 v96, v8, v4, v96                                 // 000000004A58: D1CB0060 05820908
	v_fma_f32 v97, v9, v4, v97                                 // 000000004A60: D1CB0061 05860909
	v_fma_f32 v98, v10, v4, v98                                // 000000004A68: D1CB0062 058A090A
	v_fma_f32 v99, v11, v4, v99                                // 000000004A70: D1CB0063 058E090B
	v_mul_f32_dpp v6, v27, v37 row_newbcast:0 row_mask:0xf bank_mask:0xf// 000000004A78: 0A0C4AFA FF01501B
	v_mfma_f32_16x16x32_fp8_fp8 v[8:11], a[80:81], a[56:57], 0 // 000000004A80: D3F30008 1A027150
	s_add_u32 s60, 0x180, s80                                  // 000000004A88: 803C50FF 00000180
	s_cmp_lt_u32 s60, s81                                      // 000000004A90: BF0A513C
	s_cselect_b32 s57, s57, 0                                  // 000000004A94: 85398039
	s_cselect_b32 s3, s3, 0                                    // 000000004A98: 85038003
	v_mfma_f32_16x16x32_fp8_fp8 v[8:11], a[82:83], a[58:59], v[8:11]// 000000004A9C: D3F30008 1C227552
	s_add_u32 s60, 0x100, s80                                  // 000000004AA4: 803C50FF 00000100
	s_cmp_lt_u32 s60, s81                                      // 000000004AAC: BF0A513C
	s_cselect_b32 s58, s58, 0                                  // 000000004AB0: 853A803A
	v_mfma_f32_16x16x32_fp8_fp8 v[8:11], a[84:85], a[60:61], v[8:11]// 000000004AB4: D3F30008 1C227954
	s_add_u32 s60, 0x100, s80                                  // 000000004ABC: 803C50FF 00000100
	s_cmp_lt_u32 s60, s81                                      // 000000004AC4: BF0A513C
	s_cselect_b32 s83, s83, 0                                  // 000000004AC8: 85538053
	s_cselect_b32 s4, s4, 0                                    // 000000004ACC: 85048004
	v_mfma_f32_16x16x32_fp8_fp8 v[8:11], a[86:87], a[62:63], v[8:11]// 000000004AD0: D3F30008 1C227D56
	s_add_u32 s24, s58, s24                                    // 000000004AD8: 8018183A
	s_addc_u32 s25, 0, s25                                     // 000000004ADC: 82191980
	v_fma_f32 v112, v12, v4, v112                              // 000000004AE0: D1CB0070 05C2090C
	v_fma_f32 v113, v13, v4, v113                              // 000000004AE8: D1CB0071 05C6090D
	v_fma_f32 v114, v14, v4, v114                              // 000000004AF0: D1CB0072 05CA090E
	v_fma_f32 v115, v15, v4, v115                              // 000000004AF8: D1CB0073 05CE090F
	v_mfma_f32_16x16x32_fp8_fp8 v[12:15], a[88:89], a[56:57], 0// 000000004B00: D3F3000C 1A027158
	s_add_u32 s20, s57, s20                                    // 000000004B08: 80141439
	s_addc_u32 s21, 0, s21                                     // 000000004B0C: 82151580
	s_add_u32 s28, s3, s28                                     // 000000004B10: 801C1C03
	s_addc_u32 s29, 0, s29                                     // 000000004B14: 821D1D80
	v_mfma_f32_16x16x32_fp8_fp8 v[12:15], a[90:91], a[58:59], v[12:15]// 000000004B18: D3F3000C 1C32755A
	s_add_u32 s84, s83, s84                                    // 000000004B20: 80545453
	s_addc_u32 s85, 0, s85                                     // 000000004B24: 82555580
	v_mfma_f32_16x16x32_fp8_fp8 v[12:15], a[92:93], a[60:61], v[12:15]// 000000004B28: D3F3000C 1C32795C
	s_add_u32 s32, s4, s32                                     // 000000004B30: 80202004
	s_addc_u32 s33, 0, s33                                     // 000000004B34: 82212180
	v_mfma_f32_16x16x32_fp8_fp8 v[12:15], a[94:95], a[62:63], v[12:15]// 000000004B38: D3F3000C 1C327D5E
	v_fma_f32 v100, v8, v6, v100                               // 000000004B40: D1CB0064 05920D08
	v_fma_f32 v101, v9, v6, v101                               // 000000004B48: D1CB0065 05960D09
	v_fma_f32 v102, v10, v6, v102                              // 000000004B50: D1CB0066 059A0D0A
	v_fma_f32 v103, v11, v6, v103                              // 000000004B58: D1CB0067 059E0D0B
	v_fma_f32 v116, v12, v6, v116                              // 000000004B60: D1CB0074 05D20D0C
	v_fma_f32 v117, v13, v6, v117                              // 000000004B68: D1CB0075 05D60D0D
	v_fma_f32 v118, v14, v6, v118                              // 000000004B70: D1CB0076 05DA0D0E
	v_fma_f32 v119, v15, v6, v119                              // 000000004B78: D1CB0077 05DE0D0F
	s_addk_i32 s80, 0x80                                       // 000000004B80: B7500080
	s_cmp_lt_i32 s80, s81                                      // 000000004B84: BF045150
	s_cbranch_scc0 label_0B56                                  // 000000004B88: BF8402F3
	s_waitcnt vmcnt(17) lgkmcnt(0)                             // 000000004B8C: BF8C4071
	v_mul_f32_dpp v4, v25, v38 row_newbcast:0 row_mask:0xf bank_mask:0xf// 000000004B90: 0A084CFA FF015019
	v_mfma_f32_16x16x32_fp8_fp8 v[8:11], a[96:97], a[0:1], 0   // 000000004B98: D3F30008 1A020160
	buffer_load_dword v26, v22, s[32:35], 0 offen              // 000000004BA0: E0501000 80081A16
	v_mfma_f32_16x16x32_fp8_fp8 v[8:11], a[98:99], a[2:3], v[8:11]// 000000004BA8: D3F30008 1C220562
	buffer_load_dwordx4 a[80:83], v54, s[24:27], 0 offen       // 000000004BB0: E05C1000 80865036
	v_mfma_f32_16x16x32_fp8_fp8 v[8:11], a[100:101], a[4:5], v[8:11]// 000000004BB8: D3F30008 1C220964
	v_mfma_f32_16x16x32_fp8_fp8 v[8:11], a[102:103], a[6:7], v[8:11]// 000000004BC0: D3F30008 1C220D66
	v_mfma_f32_16x16x32_fp8_fp8 v[12:15], a[104:105], a[0:1], 0// 000000004BC8: D3F3000C 1A020168
	v_mfma_f32_16x16x32_fp8_fp8 v[12:15], a[106:107], a[2:3], v[12:15]// 000000004BD0: D3F3000C 1C32056A
	buffer_load_dwordx4 a[84:87], v54, s[24:27], 0 offen offset:1024// 000000004BD8: E05C1400 80865436
	v_mfma_f32_16x16x32_fp8_fp8 v[12:15], a[108:109], a[4:5], v[12:15]// 000000004BE0: D3F3000C 1C32096C
	v_mfma_f32_16x16x32_fp8_fp8 v[12:15], a[110:111], a[6:7], v[12:15]// 000000004BE8: D3F3000C 1C320D6E
	v_fma_f32 v56, v8, v4, v56                                 // 000000004BF0: D1CB0038 04E20908
	v_fma_f32 v57, v9, v4, v57                                 // 000000004BF8: D1CB0039 04E60909
	v_fma_f32 v58, v10, v4, v58                                // 000000004C00: D1CB003A 04EA090A
	v_fma_f32 v59, v11, v4, v59                                // 000000004C08: D1CB003B 04EE090B
	v_mul_f32_dpp v6, v25, v39 row_newbcast:0 row_mask:0xf bank_mask:0xf// 000000004C10: 0A0C4EFA FF015019
	v_mfma_f32_16x16x32_fp8_fp8 v[8:11], a[96:97], a[8:9], 0   // 000000004C18: D3F30008 1A021160
	v_mfma_f32_16x16x32_fp8_fp8 v[8:11], a[98:99], a[10:11], v[8:11]// 000000004C20: D3F30008 1C221562
	buffer_load_dwordx4 a[88:91], v55, s[24:27], 0 offen       // 000000004C28: E05C1000 80865837
	v_mfma_f32_16x16x32_fp8_fp8 v[8:11], a[100:101], a[12:13], v[8:11]// 000000004C30: D3F30008 1C221964
	v_mfma_f32_16x16x32_fp8_fp8 v[8:11], a[102:103], a[14:15], v[8:11]// 000000004C38: D3F30008 1C221D66
	v_fma_f32 v72, v12, v4, v72                                // 000000004C40: D1CB0048 0522090C
	v_fma_f32 v73, v13, v4, v73                                // 000000004C48: D1CB0049 0526090D
	v_fma_f32 v74, v14, v4, v74                                // 000000004C50: D1CB004A 052A090E
	v_fma_f32 v75, v15, v4, v75                                // 000000004C58: D1CB004B 052E090F
	v_mfma_f32_16x16x32_fp8_fp8 v[12:15], a[104:105], a[8:9], 0// 000000004C60: D3F3000C 1A021168
	v_mfma_f32_16x16x32_fp8_fp8 v[12:15], a[106:107], a[10:11], v[12:15]// 000000004C68: D3F3000C 1C32156A
	buffer_load_dwordx4 a[92:95], v55, s[24:27], 0 offen offset:1024// 000000004C70: E05C1400 80865C37
	buffer_load_dword v46, s[20:23], 0 offen lds               // 000000004C78: E0511000 8005002E
	s_add_u32 m0, 0x100, s48                                   // 000000004C80: 807C30FF 00000100
	v_mfma_f32_16x16x32_fp8_fp8 v[12:15], a[108:109], a[12:13], v[12:15]// 000000004C88: D3F3000C 1C32196C
	v_mfma_f32_16x16x32_fp8_fp8 v[12:15], a[110:111], a[14:15], v[12:15]// 000000004C90: D3F3000C 1C321D6E
	buffer_load_dword v47, s[20:23], 0 offen lds               // 000000004C98: E0511000 8005002F
	s_add_u32 m0, 0x200, s48                                   // 000000004CA0: 807C30FF 00000200
	v_fma_f32 v60, v8, v6, v60                                 // 000000004CA8: D1CB003C 04F20D08
	v_fma_f32 v61, v9, v6, v61                                 // 000000004CB0: D1CB003D 04F60D09
	v_fma_f32 v62, v10, v6, v62                                // 000000004CB8: D1CB003E 04FA0D0A
	v_fma_f32 v63, v11, v6, v63                                // 000000004CC0: D1CB003F 04FE0D0B
	v_mul_f32_dpp v4, v25, v40 row_newbcast:0 row_mask:0xf bank_mask:0xf// 000000004CC8: 0A0850FA FF015019
	v_mfma_f32_16x16x32_fp8_fp8 v[8:11], a[96:97], a[16:17], 0 // 000000004CD0: D3F30008 1A022160
	v_mfma_f32_16x16x32_fp8_fp8 v[8:11], a[98:99], a[18:19], v[8:11]// 000000004CD8: D3F30008 1C222562
	buffer_load_dword v48, s[20:23], 0 offen lds               // 000000004CE0: E0511000 80050030
	s_add_u32 m0, 0x300, s48                                   // 000000004CE8: 807C30FF 00000300
	v_mfma_f32_16x16x32_fp8_fp8 v[8:11], a[100:101], a[20:21], v[8:11]// 000000004CF0: D3F30008 1C222964
	v_mfma_f32_16x16x32_fp8_fp8 v[8:11], a[102:103], a[22:23], v[8:11]// 000000004CF8: D3F30008 1C222D66
	buffer_load_dword v49, s[20:23], 0 offen lds               // 000000004D00: E0511000 80050031
	s_add_u32 m0, 0x400, s48                                   // 000000004D08: 807C30FF 00000400
	v_fma_f32 v76, v12, v6, v76                                // 000000004D10: D1CB004C 05320D0C
	v_fma_f32 v77, v13, v6, v77                                // 000000004D18: D1CB004D 05360D0D
	v_fma_f32 v78, v14, v6, v78                                // 000000004D20: D1CB004E 053A0D0E
	v_fma_f32 v79, v15, v6, v79                                // 000000004D28: D1CB004F 053E0D0F
	v_mfma_f32_16x16x32_fp8_fp8 v[12:15], a[104:105], a[16:17], 0// 000000004D30: D3F3000C 1A022168
	v_mfma_f32_16x16x32_fp8_fp8 v[12:15], a[106:107], a[18:19], v[12:15]// 000000004D38: D3F3000C 1C32256A
	buffer_load_dword v50, s[20:23], 0 offen lds               // 000000004D40: E0511000 80050032
	s_add_u32 m0, 0x500, s48                                   // 000000004D48: 807C30FF 00000500
	v_mfma_f32_16x16x32_fp8_fp8 v[12:15], a[108:109], a[20:21], v[12:15]// 000000004D50: D3F3000C 1C32296C
	v_mfma_f32_16x16x32_fp8_fp8 v[12:15], a[110:111], a[22:23], v[12:15]// 000000004D58: D3F3000C 1C322D6E
	buffer_load_dword v51, s[20:23], 0 offen lds               // 000000004D60: E0511000 80050033
	s_add_u32 m0, 0x600, s48                                   // 000000004D68: 807C30FF 00000600
	v_fma_f32 v64, v8, v4, v64                                 // 000000004D70: D1CB0040 05020908
	v_fma_f32 v65, v9, v4, v65                                 // 000000004D78: D1CB0041 05060909
	v_fma_f32 v66, v10, v4, v66                                // 000000004D80: D1CB0042 050A090A
	v_fma_f32 v67, v11, v4, v67                                // 000000004D88: D1CB0043 050E090B
	v_mul_f32_dpp v6, v25, v41 row_newbcast:0 row_mask:0xf bank_mask:0xf// 000000004D90: 0A0C52FA FF015019
	v_mfma_f32_16x16x32_fp8_fp8 v[8:11], a[96:97], a[24:25], 0 // 000000004D98: D3F30008 1A023160
	v_mfma_f32_16x16x32_fp8_fp8 v[8:11], a[98:99], a[26:27], v[8:11]// 000000004DA0: D3F30008 1C223562
	buffer_load_dword v52, s[20:23], 0 offen lds               // 000000004DA8: E0511000 80050034
	s_add_u32 m0, 0x700, s48                                   // 000000004DB0: 807C30FF 00000700
	v_mfma_f32_16x16x32_fp8_fp8 v[8:11], a[100:101], a[28:29], v[8:11]// 000000004DB8: D3F30008 1C223964
	v_mfma_f32_16x16x32_fp8_fp8 v[8:11], a[102:103], a[30:31], v[8:11]// 000000004DC0: D3F30008 1C223D66
	buffer_load_dword v53, s[20:23], 0 offen lds               // 000000004DC8: E0511000 80050035
	s_add_u32 m0, 0, s49                                       // 000000004DD0: 807C3180
	v_fma_f32 v80, v12, v4, v80                                // 000000004DD4: D1CB0050 0542090C
	v_fma_f32 v81, v13, v4, v81                                // 000000004DDC: D1CB0051 0546090D
	v_fma_f32 v82, v14, v4, v82                                // 000000004DE4: D1CB0052 054A090E
	v_fma_f32 v83, v15, v4, v83                                // 000000004DEC: D1CB0053 054E090F
	v_mfma_f32_16x16x32_fp8_fp8 v[12:15], a[104:105], a[24:25], 0// 000000004DF4: D3F3000C 1A023168
	v_mfma_f32_16x16x32_fp8_fp8 v[12:15], a[106:107], a[26:27], v[12:15]// 000000004DFC: D3F3000C 1C32356A
	buffer_load_dword v34, v30, s[28:31], 0 offen              // 000000004E04: E0501000 8007221E
	v_mfma_f32_16x16x32_fp8_fp8 v[12:15], a[108:109], a[28:29], v[12:15]// 000000004E0C: D3F3000C 1C32396C
	v_mfma_f32_16x16x32_fp8_fp8 v[12:15], a[110:111], a[30:31], v[12:15]// 000000004E14: D3F3000C 1C323D6E
	buffer_load_dword v35, v31, s[28:31], 0 offen              // 000000004E1C: E0501000 8007231F
	v_fma_f32 v68, v8, v6, v68                                 // 000000004E24: D1CB0044 05120D08
	v_fma_f32 v69, v9, v6, v69                                 // 000000004E2C: D1CB0045 05160D09
	v_fma_f32 v70, v10, v6, v70                                // 000000004E34: D1CB0046 051A0D0A
	v_fma_f32 v71, v11, v6, v71                                // 000000004E3C: D1CB0047 051E0D0B
	v_fma_f32 v84, v12, v6, v84                                // 000000004E44: D1CB0054 05520D0C
	v_fma_f32 v85, v13, v6, v85                                // 000000004E4C: D1CB0055 05560D0D
	v_fma_f32 v86, v14, v6, v86                                // 000000004E54: D1CB0056 055A0D0E
	v_fma_f32 v87, v15, v6, v87                                // 000000004E5C: D1CB0057 055E0D0F
	buffer_load_dword v36, v32, s[28:31], 0 offen              // 000000004E64: E0501000 80072420
	buffer_load_dword v37, v33, s[28:31], 0 offen              // 000000004E6C: E0501000 80072521
	s_waitcnt vmcnt(17)                                        // 000000004E74: BF8C4F71
	s_barrier                                                  // 000000004E78: BF8A0000
	v_mul_f32_dpp v4, v28, v38 row_newbcast:0 row_mask:0xf bank_mask:0xf// 000000004E7C: 0A084CFA FF01501C
	v_mfma_f32_16x16x32_fp8_fp8 v[8:11], a[64:65], a[0:1], 0   // 000000004E84: D3F30008 1A020140
	buffer_load_dword v29, v23, s[32:35], 0 offen              // 000000004E8C: E0501000 80081D17
	v_mfma_f32_16x16x32_fp8_fp8 v[8:11], a[66:67], a[2:3], v[8:11]// 000000004E94: D3F30008 1C220542
	buffer_load_dwordx4 a[96:99], v54, s[84:87], 0 offen       // 000000004E9C: E05C1000 80956036
	v_mfma_f32_16x16x32_fp8_fp8 v[8:11], a[68:69], a[4:5], v[8:11]// 000000004EA4: D3F30008 1C220944
	v_mfma_f32_16x16x32_fp8_fp8 v[8:11], a[70:71], a[6:7], v[8:11]// 000000004EAC: D3F30008 1C220D46
	ds_read_b128 a[32:35], v2 offset:16640                     // 000000004EB4: DBFE4100 20000002
	ds_read_b128 a[36:39], v2 offset:16704                     // 000000004EBC: DBFE4140 24000002
	v_mfma_f32_16x16x32_fp8_fp8 v[12:15], a[72:73], a[0:1], 0  // 000000004EC4: D3F3000C 1A020148
	v_mfma_f32_16x16x32_fp8_fp8 v[12:15], a[74:75], a[2:3], v[12:15]// 000000004ECC: D3F3000C 1C32054A
	buffer_load_dwordx4 a[100:103], v54, s[84:87], 0 offen offset:1024// 000000004ED4: E05C1400 80956436
	v_mfma_f32_16x16x32_fp8_fp8 v[12:15], a[76:77], a[4:5], v[12:15]// 000000004EDC: D3F3000C 1C32094C
	v_mfma_f32_16x16x32_fp8_fp8 v[12:15], a[78:79], a[6:7], v[12:15]// 000000004EE4: D3F3000C 1C320D4E
	ds_read_b128 a[40:43], v2 offset:17152                     // 000000004EEC: DBFE4300 28000002
	ds_read_b128 a[44:47], v2 offset:17216                     // 000000004EF4: DBFE4340 2C000002
	v_fma_f32 v88, v8, v4, v88                                 // 000000004EFC: D1CB0058 05620908
	v_fma_f32 v89, v9, v4, v89                                 // 000000004F04: D1CB0059 05660909
	v_fma_f32 v90, v10, v4, v90                                // 000000004F0C: D1CB005A 056A090A
	v_fma_f32 v91, v11, v4, v91                                // 000000004F14: D1CB005B 056E090B
	v_mul_f32_dpp v6, v28, v39 row_newbcast:0 row_mask:0xf bank_mask:0xf// 000000004F1C: 0A0C4EFA FF01501C
	v_mfma_f32_16x16x32_fp8_fp8 v[8:11], a[64:65], a[8:9], 0   // 000000004F24: D3F30008 1A021140
	v_mfma_f32_16x16x32_fp8_fp8 v[8:11], a[66:67], a[10:11], v[8:11]// 000000004F2C: D3F30008 1C221542
	buffer_load_dwordx4 a[104:107], v55, s[84:87], 0 offen     // 000000004F34: E05C1000 80956837
	v_mfma_f32_16x16x32_fp8_fp8 v[8:11], a[68:69], a[12:13], v[8:11]// 000000004F3C: D3F30008 1C221944
	v_mfma_f32_16x16x32_fp8_fp8 v[8:11], a[70:71], a[14:15], v[8:11]// 000000004F44: D3F30008 1C221D46
	ds_read_b128 a[48:51], v2 offset:17664                     // 000000004F4C: DBFE4500 30000002
	ds_read_b128 a[52:55], v2 offset:17728                     // 000000004F54: DBFE4540 34000002
	v_fma_f32 v104, v12, v4, v104                              // 000000004F5C: D1CB0068 05A2090C
	v_fma_f32 v105, v13, v4, v105                              // 000000004F64: D1CB0069 05A6090D
	v_fma_f32 v106, v14, v4, v106                              // 000000004F6C: D1CB006A 05AA090E
	v_fma_f32 v107, v15, v4, v107                              // 000000004F74: D1CB006B 05AE090F
	v_mfma_f32_16x16x32_fp8_fp8 v[12:15], a[72:73], a[8:9], 0  // 000000004F7C: D3F3000C 1A021148
	v_mfma_f32_16x16x32_fp8_fp8 v[12:15], a[74:75], a[10:11], v[12:15]// 000000004F84: D3F3000C 1C32154A
	buffer_load_dwordx4 a[108:111], v55, s[84:87], 0 offen offset:1024// 000000004F8C: E05C1400 80956C37
	v_mfma_f32_16x16x32_fp8_fp8 v[12:15], a[76:77], a[12:13], v[12:15]// 000000004F94: D3F3000C 1C32194C
	v_mfma_f32_16x16x32_fp8_fp8 v[12:15], a[78:79], a[14:15], v[12:15]// 000000004F9C: D3F3000C 1C321D4E
	ds_read_b128 a[56:59], v2 offset:18176                     // 000000004FA4: DBFE4700 38000002
	ds_read_b128 a[60:63], v2 offset:18240                     // 000000004FAC: DBFE4740 3C000002
	v_fma_f32 v92, v8, v6, v92                                 // 000000004FB4: D1CB005C 05720D08
	v_fma_f32 v93, v9, v6, v93                                 // 000000004FBC: D1CB005D 05760D09
	v_fma_f32 v94, v10, v6, v94                                // 000000004FC4: D1CB005E 057A0D0A
	v_fma_f32 v95, v11, v6, v95                                // 000000004FCC: D1CB005F 057E0D0B
	v_mul_f32_dpp v4, v28, v40 row_newbcast:0 row_mask:0xf bank_mask:0xf// 000000004FD4: 0A0850FA FF01501C
	v_mfma_f32_16x16x32_fp8_fp8 v[8:11], a[64:65], a[16:17], 0 // 000000004FDC: D3F30008 1A022140
	v_mfma_f32_16x16x32_fp8_fp8 v[8:11], a[66:67], a[18:19], v[8:11]// 000000004FE4: D3F30008 1C222542
	v_mfma_f32_16x16x32_fp8_fp8 v[8:11], a[68:69], a[20:21], v[8:11]// 000000004FEC: D3F30008 1C222944
	v_mfma_f32_16x16x32_fp8_fp8 v[8:11], a[70:71], a[22:23], v[8:11]// 000000004FF4: D3F30008 1C222D46
	v_fma_f32 v108, v12, v6, v108                              // 000000004FFC: D1CB006C 05B20D0C
	v_fma_f32 v109, v13, v6, v109                              // 000000005004: D1CB006D 05B60D0D
	v_fma_f32 v110, v14, v6, v110                              // 00000000500C: D1CB006E 05BA0D0E
	v_fma_f32 v111, v15, v6, v111                              // 000000005014: D1CB006F 05BE0D0F
	v_mfma_f32_16x16x32_fp8_fp8 v[12:15], a[72:73], a[16:17], 0// 00000000501C: D3F3000C 1A022148
	v_mfma_f32_16x16x32_fp8_fp8 v[12:15], a[74:75], a[18:19], v[12:15]// 000000005024: D3F3000C 1C32254A
	v_mfma_f32_16x16x32_fp8_fp8 v[12:15], a[76:77], a[20:21], v[12:15]// 00000000502C: D3F3000C 1C32294C
	v_mfma_f32_16x16x32_fp8_fp8 v[12:15], a[78:79], a[22:23], v[12:15]// 000000005034: D3F3000C 1C322D4E
	v_fma_f32 v96, v8, v4, v96                                 // 00000000503C: D1CB0060 05820908
	v_fma_f32 v97, v9, v4, v97                                 // 000000005044: D1CB0061 05860909
	v_fma_f32 v98, v10, v4, v98                                // 00000000504C: D1CB0062 058A090A
	v_fma_f32 v99, v11, v4, v99                                // 000000005054: D1CB0063 058E090B
	v_mul_f32_dpp v6, v28, v41 row_newbcast:0 row_mask:0xf bank_mask:0xf// 00000000505C: 0A0C52FA FF01501C
	v_mfma_f32_16x16x32_fp8_fp8 v[8:11], a[64:65], a[24:25], 0 // 000000005064: D3F30008 1A023140
	s_add_u32 s60, 0x180, s80                                  // 00000000506C: 803C50FF 00000180
	s_cmp_lt_u32 s60, s81                                      // 000000005074: BF0A513C
	s_cselect_b32 s57, s57, 0                                  // 000000005078: 85398039
	s_cselect_b32 s3, s3, 0                                    // 00000000507C: 85038003
	v_mfma_f32_16x16x32_fp8_fp8 v[8:11], a[66:67], a[26:27], v[8:11]// 000000005080: D3F30008 1C223542
	s_add_u32 s60, 0x100, s80                                  // 000000005088: 803C50FF 00000100
	s_cmp_lt_u32 s60, s81                                      // 000000005090: BF0A513C
	s_cselect_b32 s58, s58, 0                                  // 000000005094: 853A803A
	v_mfma_f32_16x16x32_fp8_fp8 v[8:11], a[68:69], a[28:29], v[8:11]// 000000005098: D3F30008 1C223944
	s_add_u32 s60, 0x100, s80                                  // 0000000050A0: 803C50FF 00000100
	s_cmp_lt_u32 s60, s81                                      // 0000000050A8: BF0A513C
	s_cselect_b32 s83, s83, 0                                  // 0000000050AC: 85538053
	s_cselect_b32 s4, s4, 0                                    // 0000000050B0: 85048004
	v_mfma_f32_16x16x32_fp8_fp8 v[8:11], a[70:71], a[30:31], v[8:11]// 0000000050B4: D3F30008 1C223D46
	s_add_u32 s24, s58, s24                                    // 0000000050BC: 8018183A
	s_addc_u32 s25, 0, s25                                     // 0000000050C0: 82191980
	v_fma_f32 v112, v12, v4, v112                              // 0000000050C4: D1CB0070 05C2090C
	v_fma_f32 v113, v13, v4, v113                              // 0000000050CC: D1CB0071 05C6090D
	v_fma_f32 v114, v14, v4, v114                              // 0000000050D4: D1CB0072 05CA090E
	v_fma_f32 v115, v15, v4, v115                              // 0000000050DC: D1CB0073 05CE090F
	v_mfma_f32_16x16x32_fp8_fp8 v[12:15], a[72:73], a[24:25], 0// 0000000050E4: D3F3000C 1A023148
	s_add_u32 s20, s57, s20                                    // 0000000050EC: 80141439
	s_addc_u32 s21, 0, s21                                     // 0000000050F0: 82151580
	s_add_u32 s28, s3, s28                                     // 0000000050F4: 801C1C03
	s_addc_u32 s29, 0, s29                                     // 0000000050F8: 821D1D80
	v_mfma_f32_16x16x32_fp8_fp8 v[12:15], a[74:75], a[26:27], v[12:15]// 0000000050FC: D3F3000C 1C32354A
	s_add_u32 s84, s83, s84                                    // 000000005104: 80545453
	s_addc_u32 s85, 0, s85                                     // 000000005108: 82555580
	v_mfma_f32_16x16x32_fp8_fp8 v[12:15], a[76:77], a[28:29], v[12:15]// 00000000510C: D3F3000C 1C32394C
	s_add_u32 s32, s4, s32                                     // 000000005114: 80202004
	s_addc_u32 s33, 0, s33                                     // 000000005118: 82212180
	v_mfma_f32_16x16x32_fp8_fp8 v[12:15], a[78:79], a[30:31], v[12:15]// 00000000511C: D3F3000C 1C323D4E
	v_fma_f32 v100, v8, v6, v100                               // 000000005124: D1CB0064 05920D08
	v_fma_f32 v101, v9, v6, v101                               // 00000000512C: D1CB0065 05960D09
	v_fma_f32 v102, v10, v6, v102                              // 000000005134: D1CB0066 059A0D0A
	v_fma_f32 v103, v11, v6, v103                              // 00000000513C: D1CB0067 059E0D0B
	v_fma_f32 v116, v12, v6, v116                              // 000000005144: D1CB0074 05D20D0C
	v_fma_f32 v117, v13, v6, v117                              // 00000000514C: D1CB0075 05D60D0D
	v_fma_f32 v118, v14, v6, v118                              // 000000005154: D1CB0076 05DA0D0E
	v_fma_f32 v119, v15, v6, v119                              // 00000000515C: D1CB0077 05DE0D0F
	s_addk_i32 s80, 0x80                                       // 000000005164: B7500080
	s_cmp_lt_i32 s80, s81                                      // 000000005168: BF045150
	s_cbranch_scc0 label_0B56                                  // 00000000516C: BF84017A
	s_waitcnt vmcnt(17) lgkmcnt(0)                             // 000000005170: BF8C4071
	v_mul_f32_dpp v4, v26, v42 row_newbcast:0 row_mask:0xf bank_mask:0xf// 000000005174: 0A0854FA FF01501A
	v_mfma_f32_16x16x32_fp8_fp8 v[8:11], a[80:81], a[32:33], 0 // 00000000517C: D3F30008 1A024150
	buffer_load_dword v24, v22, s[32:35], 0 offen              // 000000005184: E0501000 80081816
	v_mfma_f32_16x16x32_fp8_fp8 v[8:11], a[82:83], a[34:35], v[8:11]// 00000000518C: D3F30008 1C224552
	buffer_load_dwordx4 a[64:67], v54, s[24:27], 0 offen       // 000000005194: E05C1000 80864036
	v_mfma_f32_16x16x32_fp8_fp8 v[8:11], a[84:85], a[36:37], v[8:11]// 00000000519C: D3F30008 1C224954
	v_mfma_f32_16x16x32_fp8_fp8 v[8:11], a[86:87], a[38:39], v[8:11]// 0000000051A4: D3F30008 1C224D56
	v_mfma_f32_16x16x32_fp8_fp8 v[12:15], a[88:89], a[32:33], 0// 0000000051AC: D3F3000C 1A024158
	v_mfma_f32_16x16x32_fp8_fp8 v[12:15], a[90:91], a[34:35], v[12:15]// 0000000051B4: D3F3000C 1C32455A
	buffer_load_dwordx4 a[68:71], v54, s[24:27], 0 offen offset:1024// 0000000051BC: E05C1400 80864436
	v_mfma_f32_16x16x32_fp8_fp8 v[12:15], a[92:93], a[36:37], v[12:15]// 0000000051C4: D3F3000C 1C32495C
	v_mfma_f32_16x16x32_fp8_fp8 v[12:15], a[94:95], a[38:39], v[12:15]// 0000000051CC: D3F3000C 1C324D5E
	v_fma_f32 v56, v8, v4, v56                                 // 0000000051D4: D1CB0038 04E20908
	v_fma_f32 v57, v9, v4, v57                                 // 0000000051DC: D1CB0039 04E60909
	v_fma_f32 v58, v10, v4, v58                                // 0000000051E4: D1CB003A 04EA090A
	v_fma_f32 v59, v11, v4, v59                                // 0000000051EC: D1CB003B 04EE090B
	v_mul_f32_dpp v6, v26, v43 row_newbcast:0 row_mask:0xf bank_mask:0xf// 0000000051F4: 0A0C56FA FF01501A
	v_mfma_f32_16x16x32_fp8_fp8 v[8:11], a[80:81], a[40:41], 0 // 0000000051FC: D3F30008 1A025150
	v_mfma_f32_16x16x32_fp8_fp8 v[8:11], a[82:83], a[42:43], v[8:11]// 000000005204: D3F30008 1C225552
	buffer_load_dwordx4 a[72:75], v55, s[24:27], 0 offen       // 00000000520C: E05C1000 80864837
	v_mfma_f32_16x16x32_fp8_fp8 v[8:11], a[84:85], a[44:45], v[8:11]// 000000005214: D3F30008 1C225954
	v_mfma_f32_16x16x32_fp8_fp8 v[8:11], a[86:87], a[46:47], v[8:11]// 00000000521C: D3F30008 1C225D56
	v_fma_f32 v72, v12, v4, v72                                // 000000005224: D1CB0048 0522090C
	v_fma_f32 v73, v13, v4, v73                                // 00000000522C: D1CB0049 0526090D
	v_fma_f32 v74, v14, v4, v74                                // 000000005234: D1CB004A 052A090E
	v_fma_f32 v75, v15, v4, v75                                // 00000000523C: D1CB004B 052E090F
	v_mfma_f32_16x16x32_fp8_fp8 v[12:15], a[88:89], a[40:41], 0// 000000005244: D3F3000C 1A025158
	v_mfma_f32_16x16x32_fp8_fp8 v[12:15], a[90:91], a[42:43], v[12:15]// 00000000524C: D3F3000C 1C32555A
	buffer_load_dwordx4 a[76:79], v55, s[24:27], 0 offen offset:1024// 000000005254: E05C1400 80864C37
	buffer_load_dword v46, s[20:23], 0 offen lds               // 00000000525C: E0511000 8005002E
	s_add_u32 m0, 0x100, s49                                   // 000000005264: 807C31FF 00000100
	v_mfma_f32_16x16x32_fp8_fp8 v[12:15], a[92:93], a[44:45], v[12:15]// 00000000526C: D3F3000C 1C32595C
	v_mfma_f32_16x16x32_fp8_fp8 v[12:15], a[94:95], a[46:47], v[12:15]// 000000005274: D3F3000C 1C325D5E
	buffer_load_dword v47, s[20:23], 0 offen lds               // 00000000527C: E0511000 8005002F
	s_add_u32 m0, 0x200, s49                                   // 000000005284: 807C31FF 00000200
	v_fma_f32 v60, v8, v6, v60                                 // 00000000528C: D1CB003C 04F20D08
	v_fma_f32 v61, v9, v6, v61                                 // 000000005294: D1CB003D 04F60D09
	v_fma_f32 v62, v10, v6, v62                                // 00000000529C: D1CB003E 04FA0D0A
	v_fma_f32 v63, v11, v6, v63                                // 0000000052A4: D1CB003F 04FE0D0B
	v_mul_f32_dpp v4, v26, v44 row_newbcast:0 row_mask:0xf bank_mask:0xf// 0000000052AC: 0A0858FA FF01501A
	v_mfma_f32_16x16x32_fp8_fp8 v[8:11], a[80:81], a[48:49], 0 // 0000000052B4: D3F30008 1A026150
	v_mfma_f32_16x16x32_fp8_fp8 v[8:11], a[82:83], a[50:51], v[8:11]// 0000000052BC: D3F30008 1C226552
	buffer_load_dword v48, s[20:23], 0 offen lds               // 0000000052C4: E0511000 80050030
	s_add_u32 m0, 0x300, s49                                   // 0000000052CC: 807C31FF 00000300
	v_mfma_f32_16x16x32_fp8_fp8 v[8:11], a[84:85], a[52:53], v[8:11]// 0000000052D4: D3F30008 1C226954
	v_mfma_f32_16x16x32_fp8_fp8 v[8:11], a[86:87], a[54:55], v[8:11]// 0000000052DC: D3F30008 1C226D56
	buffer_load_dword v49, s[20:23], 0 offen lds               // 0000000052E4: E0511000 80050031
	s_add_u32 m0, 0x400, s49                                   // 0000000052EC: 807C31FF 00000400
	v_fma_f32 v76, v12, v6, v76                                // 0000000052F4: D1CB004C 05320D0C
	v_fma_f32 v77, v13, v6, v77                                // 0000000052FC: D1CB004D 05360D0D
	v_fma_f32 v78, v14, v6, v78                                // 000000005304: D1CB004E 053A0D0E
	v_fma_f32 v79, v15, v6, v79                                // 00000000530C: D1CB004F 053E0D0F
	v_mfma_f32_16x16x32_fp8_fp8 v[12:15], a[88:89], a[48:49], 0// 000000005314: D3F3000C 1A026158
	v_mfma_f32_16x16x32_fp8_fp8 v[12:15], a[90:91], a[50:51], v[12:15]// 00000000531C: D3F3000C 1C32655A
	buffer_load_dword v50, s[20:23], 0 offen lds               // 000000005324: E0511000 80050032
	s_add_u32 m0, 0x500, s49                                   // 00000000532C: 807C31FF 00000500
	v_mfma_f32_16x16x32_fp8_fp8 v[12:15], a[92:93], a[52:53], v[12:15]// 000000005334: D3F3000C 1C32695C
	v_mfma_f32_16x16x32_fp8_fp8 v[12:15], a[94:95], a[54:55], v[12:15]// 00000000533C: D3F3000C 1C326D5E
	buffer_load_dword v51, s[20:23], 0 offen lds               // 000000005344: E0511000 80050033
	s_add_u32 m0, 0x600, s49                                   // 00000000534C: 807C31FF 00000600
	v_fma_f32 v64, v8, v4, v64                                 // 000000005354: D1CB0040 05020908
	v_fma_f32 v65, v9, v4, v65                                 // 00000000535C: D1CB0041 05060909
	v_fma_f32 v66, v10, v4, v66                                // 000000005364: D1CB0042 050A090A
	v_fma_f32 v67, v11, v4, v67                                // 00000000536C: D1CB0043 050E090B
	v_mul_f32_dpp v6, v26, v45 row_newbcast:0 row_mask:0xf bank_mask:0xf// 000000005374: 0A0C5AFA FF01501A
	v_mfma_f32_16x16x32_fp8_fp8 v[8:11], a[80:81], a[56:57], 0 // 00000000537C: D3F30008 1A027150
	v_mfma_f32_16x16x32_fp8_fp8 v[8:11], a[82:83], a[58:59], v[8:11]// 000000005384: D3F30008 1C227552
	buffer_load_dword v52, s[20:23], 0 offen lds               // 00000000538C: E0511000 80050034
	s_add_u32 m0, 0x700, s49                                   // 000000005394: 807C31FF 00000700
	v_mfma_f32_16x16x32_fp8_fp8 v[8:11], a[84:85], a[60:61], v[8:11]// 00000000539C: D3F30008 1C227954
	v_mfma_f32_16x16x32_fp8_fp8 v[8:11], a[86:87], a[62:63], v[8:11]// 0000000053A4: D3F30008 1C227D56
	buffer_load_dword v53, s[20:23], 0 offen lds               // 0000000053AC: E0511000 80050035
	s_add_u32 m0, 0, s50                                       // 0000000053B4: 807C3280
	v_fma_f32 v80, v12, v4, v80                                // 0000000053B8: D1CB0050 0542090C
	v_fma_f32 v81, v13, v4, v81                                // 0000000053C0: D1CB0051 0546090D
	v_fma_f32 v82, v14, v4, v82                                // 0000000053C8: D1CB0052 054A090E
	v_fma_f32 v83, v15, v4, v83                                // 0000000053D0: D1CB0053 054E090F
	v_mfma_f32_16x16x32_fp8_fp8 v[12:15], a[88:89], a[56:57], 0// 0000000053D8: D3F3000C 1A027158
	v_mfma_f32_16x16x32_fp8_fp8 v[12:15], a[90:91], a[58:59], v[12:15]// 0000000053E0: D3F3000C 1C32755A
	buffer_load_dword v38, v30, s[28:31], 0 offen              // 0000000053E8: E0501000 8007261E
	v_mfma_f32_16x16x32_fp8_fp8 v[12:15], a[92:93], a[60:61], v[12:15]// 0000000053F0: D3F3000C 1C32795C
	v_mfma_f32_16x16x32_fp8_fp8 v[12:15], a[94:95], a[62:63], v[12:15]// 0000000053F8: D3F3000C 1C327D5E
	buffer_load_dword v39, v31, s[28:31], 0 offen              // 000000005400: E0501000 8007271F
	v_fma_f32 v68, v8, v6, v68                                 // 000000005408: D1CB0044 05120D08
	v_fma_f32 v69, v9, v6, v69                                 // 000000005410: D1CB0045 05160D09
	v_fma_f32 v70, v10, v6, v70                                // 000000005418: D1CB0046 051A0D0A
	v_fma_f32 v71, v11, v6, v71                                // 000000005420: D1CB0047 051E0D0B
	v_fma_f32 v84, v12, v6, v84                                // 000000005428: D1CB0054 05520D0C
	v_fma_f32 v85, v13, v6, v85                                // 000000005430: D1CB0055 05560D0D
	v_fma_f32 v86, v14, v6, v86                                // 000000005438: D1CB0056 055A0D0E
	v_fma_f32 v87, v15, v6, v87                                // 000000005440: D1CB0057 055E0D0F
	buffer_load_dword v40, v32, s[28:31], 0 offen              // 000000005448: E0501000 80072820
	buffer_load_dword v41, v33, s[28:31], 0 offen              // 000000005450: E0501000 80072921
	s_waitcnt vmcnt(17)                                        // 000000005458: BF8C4F71
	s_barrier                                                  // 00000000545C: BF8A0000
	v_mul_f32_dpp v4, v29, v42 row_newbcast:0 row_mask:0xf bank_mask:0xf// 000000005460: 0A0854FA FF01501D
	v_mfma_f32_16x16x32_fp8_fp8 v[8:11], a[96:97], a[32:33], 0 // 000000005468: D3F30008 1A024160
	buffer_load_dword v27, v23, s[32:35], 0 offen              // 000000005470: E0501000 80081B17
	v_mfma_f32_16x16x32_fp8_fp8 v[8:11], a[98:99], a[34:35], v[8:11]// 000000005478: D3F30008 1C224562
	buffer_load_dwordx4 a[80:83], v54, s[84:87], 0 offen       // 000000005480: E05C1000 80955036
	v_mfma_f32_16x16x32_fp8_fp8 v[8:11], a[100:101], a[36:37], v[8:11]// 000000005488: D3F30008 1C224964
	v_mfma_f32_16x16x32_fp8_fp8 v[8:11], a[102:103], a[38:39], v[8:11]// 000000005490: D3F30008 1C224D66
	ds_read_b128 a[0:3], v2                                    // 000000005498: DBFE0000 00000002
	ds_read_b128 a[4:7], v2 offset:64                          // 0000000054A0: DBFE0040 04000002
	v_mfma_f32_16x16x32_fp8_fp8 v[12:15], a[104:105], a[32:33], 0// 0000000054A8: D3F3000C 1A024168
	v_mfma_f32_16x16x32_fp8_fp8 v[12:15], a[106:107], a[34:35], v[12:15]// 0000000054B0: D3F3000C 1C32456A
	buffer_load_dwordx4 a[84:87], v54, s[84:87], 0 offen offset:1024// 0000000054B8: E05C1400 80955436
	v_mfma_f32_16x16x32_fp8_fp8 v[12:15], a[108:109], a[36:37], v[12:15]// 0000000054C0: D3F3000C 1C32496C
	v_mfma_f32_16x16x32_fp8_fp8 v[12:15], a[110:111], a[38:39], v[12:15]// 0000000054C8: D3F3000C 1C324D6E
	ds_read_b128 a[8:11], v2 offset:512                        // 0000000054D0: DBFE0200 08000002
	ds_read_b128 a[12:15], v2 offset:576                       // 0000000054D8: DBFE0240 0C000002
	v_fma_f32 v88, v8, v4, v88                                 // 0000000054E0: D1CB0058 05620908
	v_fma_f32 v89, v9, v4, v89                                 // 0000000054E8: D1CB0059 05660909
	v_fma_f32 v90, v10, v4, v90                                // 0000000054F0: D1CB005A 056A090A
	v_fma_f32 v91, v11, v4, v91                                // 0000000054F8: D1CB005B 056E090B
	v_mul_f32_dpp v6, v29, v43 row_newbcast:0 row_mask:0xf bank_mask:0xf// 000000005500: 0A0C56FA FF01501D
	v_mfma_f32_16x16x32_fp8_fp8 v[8:11], a[96:97], a[40:41], 0 // 000000005508: D3F30008 1A025160
	v_mfma_f32_16x16x32_fp8_fp8 v[8:11], a[98:99], a[42:43], v[8:11]// 000000005510: D3F30008 1C225562
	buffer_load_dwordx4 a[88:91], v55, s[84:87], 0 offen       // 000000005518: E05C1000 80955837
	v_mfma_f32_16x16x32_fp8_fp8 v[8:11], a[100:101], a[44:45], v[8:11]// 000000005520: D3F30008 1C225964
	v_mfma_f32_16x16x32_fp8_fp8 v[8:11], a[102:103], a[46:47], v[8:11]// 000000005528: D3F30008 1C225D66
	ds_read_b128 a[16:19], v2 offset:1024                      // 000000005530: DBFE0400 10000002
	ds_read_b128 a[20:23], v2 offset:1088                      // 000000005538: DBFE0440 14000002
	v_fma_f32 v104, v12, v4, v104                              // 000000005540: D1CB0068 05A2090C
	v_fma_f32 v105, v13, v4, v105                              // 000000005548: D1CB0069 05A6090D
	v_fma_f32 v106, v14, v4, v106                              // 000000005550: D1CB006A 05AA090E
	v_fma_f32 v107, v15, v4, v107                              // 000000005558: D1CB006B 05AE090F
	v_mfma_f32_16x16x32_fp8_fp8 v[12:15], a[104:105], a[40:41], 0// 000000005560: D3F3000C 1A025168
	v_mfma_f32_16x16x32_fp8_fp8 v[12:15], a[106:107], a[42:43], v[12:15]// 000000005568: D3F3000C 1C32556A
	buffer_load_dwordx4 a[92:95], v55, s[84:87], 0 offen offset:1024// 000000005570: E05C1400 80955C37
	v_mfma_f32_16x16x32_fp8_fp8 v[12:15], a[108:109], a[44:45], v[12:15]// 000000005578: D3F3000C 1C32596C
	v_mfma_f32_16x16x32_fp8_fp8 v[12:15], a[110:111], a[46:47], v[12:15]// 000000005580: D3F3000C 1C325D6E
	ds_read_b128 a[24:27], v2 offset:1536                      // 000000005588: DBFE0600 18000002
	ds_read_b128 a[28:31], v2 offset:1600                      // 000000005590: DBFE0640 1C000002
	v_fma_f32 v92, v8, v6, v92                                 // 000000005598: D1CB005C 05720D08
	v_fma_f32 v93, v9, v6, v93                                 // 0000000055A0: D1CB005D 05760D09
	v_fma_f32 v94, v10, v6, v94                                // 0000000055A8: D1CB005E 057A0D0A
	v_fma_f32 v95, v11, v6, v95                                // 0000000055B0: D1CB005F 057E0D0B
	v_mul_f32_dpp v4, v29, v44 row_newbcast:0 row_mask:0xf bank_mask:0xf// 0000000055B8: 0A0858FA FF01501D
	v_mfma_f32_16x16x32_fp8_fp8 v[8:11], a[96:97], a[48:49], 0 // 0000000055C0: D3F30008 1A026160
	v_mfma_f32_16x16x32_fp8_fp8 v[8:11], a[98:99], a[50:51], v[8:11]// 0000000055C8: D3F30008 1C226562
	v_mfma_f32_16x16x32_fp8_fp8 v[8:11], a[100:101], a[52:53], v[8:11]// 0000000055D0: D3F30008 1C226964
	v_mfma_f32_16x16x32_fp8_fp8 v[8:11], a[102:103], a[54:55], v[8:11]// 0000000055D8: D3F30008 1C226D66
	v_fma_f32 v108, v12, v6, v108                              // 0000000055E0: D1CB006C 05B20D0C
	v_fma_f32 v109, v13, v6, v109                              // 0000000055E8: D1CB006D 05B60D0D
	v_fma_f32 v110, v14, v6, v110                              // 0000000055F0: D1CB006E 05BA0D0E
	v_fma_f32 v111, v15, v6, v111                              // 0000000055F8: D1CB006F 05BE0D0F
	v_mfma_f32_16x16x32_fp8_fp8 v[12:15], a[104:105], a[48:49], 0// 000000005600: D3F3000C 1A026168
	v_mfma_f32_16x16x32_fp8_fp8 v[12:15], a[106:107], a[50:51], v[12:15]// 000000005608: D3F3000C 1C32656A
	v_mfma_f32_16x16x32_fp8_fp8 v[12:15], a[108:109], a[52:53], v[12:15]// 000000005610: D3F3000C 1C32696C
	v_mfma_f32_16x16x32_fp8_fp8 v[12:15], a[110:111], a[54:55], v[12:15]// 000000005618: D3F3000C 1C326D6E
	v_fma_f32 v96, v8, v4, v96                                 // 000000005620: D1CB0060 05820908
	v_fma_f32 v97, v9, v4, v97                                 // 000000005628: D1CB0061 05860909
	v_fma_f32 v98, v10, v4, v98                                // 000000005630: D1CB0062 058A090A
	v_fma_f32 v99, v11, v4, v99                                // 000000005638: D1CB0063 058E090B
	v_mul_f32_dpp v6, v29, v45 row_newbcast:0 row_mask:0xf bank_mask:0xf// 000000005640: 0A0C5AFA FF01501D
	v_mfma_f32_16x16x32_fp8_fp8 v[8:11], a[96:97], a[56:57], 0 // 000000005648: D3F30008 1A027160
	s_add_u32 s60, 0x180, s80                                  // 000000005650: 803C50FF 00000180
	s_cmp_lt_u32 s60, s81                                      // 000000005658: BF0A513C
	s_cselect_b32 s57, s57, 0                                  // 00000000565C: 85398039
	s_cselect_b32 s3, s3, 0                                    // 000000005660: 85038003
	v_mfma_f32_16x16x32_fp8_fp8 v[8:11], a[98:99], a[58:59], v[8:11]// 000000005664: D3F30008 1C227562
	s_add_u32 s60, 0x100, s80                                  // 00000000566C: 803C50FF 00000100
	s_cmp_lt_u32 s60, s81                                      // 000000005674: BF0A513C
	s_cselect_b32 s58, s58, 0                                  // 000000005678: 853A803A
	v_mfma_f32_16x16x32_fp8_fp8 v[8:11], a[100:101], a[60:61], v[8:11]// 00000000567C: D3F30008 1C227964
	s_add_u32 s60, 0x100, s80                                  // 000000005684: 803C50FF 00000100
	s_cmp_lt_u32 s60, s81                                      // 00000000568C: BF0A513C
	s_cselect_b32 s83, s83, 0                                  // 000000005690: 85538053
	s_cselect_b32 s4, s4, 0                                    // 000000005694: 85048004
	v_mfma_f32_16x16x32_fp8_fp8 v[8:11], a[102:103], a[62:63], v[8:11]// 000000005698: D3F30008 1C227D66
	s_add_u32 s24, s58, s24                                    // 0000000056A0: 8018183A
	s_addc_u32 s25, 0, s25                                     // 0000000056A4: 82191980
	v_fma_f32 v112, v12, v4, v112                              // 0000000056A8: D1CB0070 05C2090C
	v_fma_f32 v113, v13, v4, v113                              // 0000000056B0: D1CB0071 05C6090D
	v_fma_f32 v114, v14, v4, v114                              // 0000000056B8: D1CB0072 05CA090E
	v_fma_f32 v115, v15, v4, v115                              // 0000000056C0: D1CB0073 05CE090F
	v_mfma_f32_16x16x32_fp8_fp8 v[12:15], a[104:105], a[56:57], 0// 0000000056C8: D3F3000C 1A027168
	s_add_u32 s20, s57, s20                                    // 0000000056D0: 80141439
	s_addc_u32 s21, 0, s21                                     // 0000000056D4: 82151580
	s_add_u32 s28, s3, s28                                     // 0000000056D8: 801C1C03
	s_addc_u32 s29, 0, s29                                     // 0000000056DC: 821D1D80
	v_mfma_f32_16x16x32_fp8_fp8 v[12:15], a[106:107], a[58:59], v[12:15]// 0000000056E0: D3F3000C 1C32756A
	s_add_u32 s84, s83, s84                                    // 0000000056E8: 80545453
	s_addc_u32 s85, 0, s85                                     // 0000000056EC: 82555580
	v_mfma_f32_16x16x32_fp8_fp8 v[12:15], a[108:109], a[60:61], v[12:15]// 0000000056F0: D3F3000C 1C32796C
	s_add_u32 s32, s4, s32                                     // 0000000056F8: 80202004
	s_addc_u32 s33, 0, s33                                     // 0000000056FC: 82212180
	v_mfma_f32_16x16x32_fp8_fp8 v[12:15], a[110:111], a[62:63], v[12:15]// 000000005700: D3F3000C 1C327D6E
	v_fma_f32 v100, v8, v6, v100                               // 000000005708: D1CB0064 05920D08
	v_fma_f32 v101, v9, v6, v101                               // 000000005710: D1CB0065 05960D09
	v_fma_f32 v102, v10, v6, v102                              // 000000005718: D1CB0066 059A0D0A
	v_fma_f32 v103, v11, v6, v103                              // 000000005720: D1CB0067 059E0D0B
	v_fma_f32 v116, v12, v6, v116                              // 000000005728: D1CB0074 05D20D0C
	v_fma_f32 v117, v13, v6, v117                              // 000000005730: D1CB0075 05D60D0D
	v_fma_f32 v118, v14, v6, v118                              // 000000005738: D1CB0076 05DA0D0E
	v_fma_f32 v119, v15, v6, v119                              // 000000005740: D1CB0077 05DE0D0F
	s_addk_i32 s80, 0x80                                       // 000000005748: B7500080
	s_cmp_lt_i32 s80, s81                                      // 00000000574C: BF045150
	s_cbranch_scc0 label_0B56                                  // 000000005750: BF840001
	s_branch label_027F                                        // 000000005754: BF82F729

0000000000005758 <label_0B56>:
	s_cmp_eq_u32 s88, 0                                        // 000000005758: BF068058
	s_cbranch_scc0 label_10D7                                  // 00000000575C: BF84057F
	s_cmp_eq_u32 s89, 0                                        // 000000005760: BF068059
	s_cbranch_scc1 label_0C9F                                  // 000000005764: BF850145
	v_mov_b32_e32 v8, v1                                       // 000000005768: 7E100301
	v_mov_b32_e32 v9, v1                                       // 00000000576C: 7E120301
	s_mov_b32 s60, s6                                          // 000000005770: BEBC0006
	s_mov_b32 s61, s6                                          // 000000005774: BEBD0006
	v_pk_mul_f32 v[4:5], v[56:57], v[56:57]                    // 000000005778: D3B14004 18027138
	v_pk_mul_f32 v[6:7], v[58:59], v[58:59]                    // 000000005780: D3B14006 1802753A
	v_pk_fma_f32 v[4:5], v[4:5], s[78:79], v[8:9]              // 000000005788: D3B04004 1C209D04
	v_pk_fma_f32 v[6:7], v[6:7], s[78:79], v[8:9]              // 000000005790: D3B04006 1C209D06
	v_pk_mul_f32 v[4:5], v[4:5], v[56:57]                      // 000000005798: D3B14004 18027104
	v_pk_mul_f32 v[6:7], v[6:7], v[58:59]                      // 0000000057A0: D3B14006 18027506
	v_pk_mul_f32 v[4:5], v[4:5], s[60:61]                      // 0000000057A8: D3B14004 18007904
	v_pk_mul_f32 v[6:7], v[6:7], s[60:61]                      // 0000000057B0: D3B14006 18007906
	v_exp_f32_e32 v4, v4                                       // 0000000057B8: 7E084104
	v_exp_f32_e32 v5, v5                                       // 0000000057BC: 7E0A4105
	v_exp_f32_e32 v6, v6                                       // 0000000057C0: 7E0C4106
	v_exp_f32_e32 v7, v7                                       // 0000000057C4: 7E0E4107
	v_add_f32_e64 v4, v4, 1.0                                  // 0000000057C8: D1010004 0001E504
	v_add_f32_e64 v5, v5, 1.0                                  // 0000000057D0: D1010005 0001E505
	v_add_f32_e64 v6, v6, 1.0                                  // 0000000057D8: D1010006 0001E506
	v_add_f32_e64 v7, v7, 1.0                                  // 0000000057E0: D1010007 0001E507
	v_rcp_f32_e32 v4, v4                                       // 0000000057E8: 7E084504
	v_rcp_f32_e32 v5, v5                                       // 0000000057EC: 7E0A4505
	v_rcp_f32_e32 v6, v6                                       // 0000000057F0: 7E0C4506
	v_rcp_f32_e32 v7, v7                                       // 0000000057F4: 7E0E4507
	v_mul_f32_e32 v56, v56, v4                                 // 0000000057F8: 0A700938
	v_mul_f32_e32 v57, v57, v5                                 // 0000000057FC: 0A720B39
	v_mul_f32_e32 v58, v58, v6                                 // 000000005800: 0A740D3A
	v_mul_f32_e32 v59, v59, v7                                 // 000000005804: 0A760F3B
	v_mul_f32_e32 v56, v56, v88                                // 000000005808: 0A70B138
	v_mul_f32_e32 v57, v57, v89                                // 00000000580C: 0A72B339
	v_mul_f32_e32 v58, v58, v90                                // 000000005810: 0A74B53A
	v_mul_f32_e32 v59, v59, v91                                // 000000005814: 0A76B73B
	v_pk_mul_f32 v[4:5], v[60:61], v[60:61]                    // 000000005818: D3B14004 1802793C
	v_pk_mul_f32 v[6:7], v[62:63], v[62:63]                    // 000000005820: D3B14006 18027D3E
	v_pk_fma_f32 v[4:5], v[4:5], s[78:79], v[8:9]              // 000000005828: D3B04004 1C209D04
	v_pk_fma_f32 v[6:7], v[6:7], s[78:79], v[8:9]              // 000000005830: D3B04006 1C209D06
	v_pk_mul_f32 v[4:5], v[4:5], v[60:61]                      // 000000005838: D3B14004 18027904
	v_pk_mul_f32 v[6:7], v[6:7], v[62:63]                      // 000000005840: D3B14006 18027D06
	v_pk_mul_f32 v[4:5], v[4:5], s[60:61]                      // 000000005848: D3B14004 18007904
	v_pk_mul_f32 v[6:7], v[6:7], s[60:61]                      // 000000005850: D3B14006 18007906
	v_exp_f32_e32 v4, v4                                       // 000000005858: 7E084104
	v_exp_f32_e32 v5, v5                                       // 00000000585C: 7E0A4105
	v_exp_f32_e32 v6, v6                                       // 000000005860: 7E0C4106
	v_exp_f32_e32 v7, v7                                       // 000000005864: 7E0E4107
	v_add_f32_e64 v4, v4, 1.0                                  // 000000005868: D1010004 0001E504
	v_add_f32_e64 v5, v5, 1.0                                  // 000000005870: D1010005 0001E505
	v_add_f32_e64 v6, v6, 1.0                                  // 000000005878: D1010006 0001E506
	v_add_f32_e64 v7, v7, 1.0                                  // 000000005880: D1010007 0001E507
	v_rcp_f32_e32 v4, v4                                       // 000000005888: 7E084504
	v_rcp_f32_e32 v5, v5                                       // 00000000588C: 7E0A4505
	v_rcp_f32_e32 v6, v6                                       // 000000005890: 7E0C4506
	v_rcp_f32_e32 v7, v7                                       // 000000005894: 7E0E4507
	v_mul_f32_e32 v60, v60, v4                                 // 000000005898: 0A78093C
	v_mul_f32_e32 v61, v61, v5                                 // 00000000589C: 0A7A0B3D
	v_mul_f32_e32 v62, v62, v6                                 // 0000000058A0: 0A7C0D3E
	v_mul_f32_e32 v63, v63, v7                                 // 0000000058A4: 0A7E0F3F
	v_mul_f32_e32 v60, v60, v92                                // 0000000058A8: 0A78B93C
	v_mul_f32_e32 v61, v61, v93                                // 0000000058AC: 0A7ABB3D
	v_mul_f32_e32 v62, v62, v94                                // 0000000058B0: 0A7CBD3E
	v_mul_f32_e32 v63, v63, v95                                // 0000000058B4: 0A7EBF3F
	v_pk_mul_f32 v[4:5], v[64:65], v[64:65]                    // 0000000058B8: D3B14004 18028140
	v_pk_mul_f32 v[6:7], v[66:67], v[66:67]                    // 0000000058C0: D3B14006 18028542
	v_pk_fma_f32 v[4:5], v[4:5], s[78:79], v[8:9]              // 0000000058C8: D3B04004 1C209D04
	v_pk_fma_f32 v[6:7], v[6:7], s[78:79], v[8:9]              // 0000000058D0: D3B04006 1C209D06
	v_pk_mul_f32 v[4:5], v[4:5], v[64:65]                      // 0000000058D8: D3B14004 18028104
	v_pk_mul_f32 v[6:7], v[6:7], v[66:67]                      // 0000000058E0: D3B14006 18028506
	v_pk_mul_f32 v[4:5], v[4:5], s[60:61]                      // 0000000058E8: D3B14004 18007904
	v_pk_mul_f32 v[6:7], v[6:7], s[60:61]                      // 0000000058F0: D3B14006 18007906
	v_exp_f32_e32 v4, v4                                       // 0000000058F8: 7E084104
	v_exp_f32_e32 v5, v5                                       // 0000000058FC: 7E0A4105
	v_exp_f32_e32 v6, v6                                       // 000000005900: 7E0C4106
	v_exp_f32_e32 v7, v7                                       // 000000005904: 7E0E4107
	v_add_f32_e64 v4, v4, 1.0                                  // 000000005908: D1010004 0001E504
	v_add_f32_e64 v5, v5, 1.0                                  // 000000005910: D1010005 0001E505
	v_add_f32_e64 v6, v6, 1.0                                  // 000000005918: D1010006 0001E506
	v_add_f32_e64 v7, v7, 1.0                                  // 000000005920: D1010007 0001E507
	v_rcp_f32_e32 v4, v4                                       // 000000005928: 7E084504
	v_rcp_f32_e32 v5, v5                                       // 00000000592C: 7E0A4505
	v_rcp_f32_e32 v6, v6                                       // 000000005930: 7E0C4506
	v_rcp_f32_e32 v7, v7                                       // 000000005934: 7E0E4507
	v_mul_f32_e32 v64, v64, v4                                 // 000000005938: 0A800940
	v_mul_f32_e32 v65, v65, v5                                 // 00000000593C: 0A820B41
	v_mul_f32_e32 v66, v66, v6                                 // 000000005940: 0A840D42
	v_mul_f32_e32 v67, v67, v7                                 // 000000005944: 0A860F43
	v_mul_f32_e32 v64, v64, v96                                // 000000005948: 0A80C140
	v_mul_f32_e32 v65, v65, v97                                // 00000000594C: 0A82C341
	v_mul_f32_e32 v66, v66, v98                                // 000000005950: 0A84C542
	v_mul_f32_e32 v67, v67, v99                                // 000000005954: 0A86C743
	v_pk_mul_f32 v[4:5], v[68:69], v[68:69]                    // 000000005958: D3B14004 18028944
	v_pk_mul_f32 v[6:7], v[70:71], v[70:71]                    // 000000005960: D3B14006 18028D46
	v_pk_fma_f32 v[4:5], v[4:5], s[78:79], v[8:9]              // 000000005968: D3B04004 1C209D04
	v_pk_fma_f32 v[6:7], v[6:7], s[78:79], v[8:9]              // 000000005970: D3B04006 1C209D06
	v_pk_mul_f32 v[4:5], v[4:5], v[68:69]                      // 000000005978: D3B14004 18028904
	v_pk_mul_f32 v[6:7], v[6:7], v[70:71]                      // 000000005980: D3B14006 18028D06
	v_pk_mul_f32 v[4:5], v[4:5], s[60:61]                      // 000000005988: D3B14004 18007904
	v_pk_mul_f32 v[6:7], v[6:7], s[60:61]                      // 000000005990: D3B14006 18007906
	v_exp_f32_e32 v4, v4                                       // 000000005998: 7E084104
	v_exp_f32_e32 v5, v5                                       // 00000000599C: 7E0A4105
	v_exp_f32_e32 v6, v6                                       // 0000000059A0: 7E0C4106
	v_exp_f32_e32 v7, v7                                       // 0000000059A4: 7E0E4107
	v_add_f32_e64 v4, v4, 1.0                                  // 0000000059A8: D1010004 0001E504
	v_add_f32_e64 v5, v5, 1.0                                  // 0000000059B0: D1010005 0001E505
	v_add_f32_e64 v6, v6, 1.0                                  // 0000000059B8: D1010006 0001E506
	v_add_f32_e64 v7, v7, 1.0                                  // 0000000059C0: D1010007 0001E507
	v_rcp_f32_e32 v4, v4                                       // 0000000059C8: 7E084504
	v_rcp_f32_e32 v5, v5                                       // 0000000059CC: 7E0A4505
	v_rcp_f32_e32 v6, v6                                       // 0000000059D0: 7E0C4506
	v_rcp_f32_e32 v7, v7                                       // 0000000059D4: 7E0E4507
	v_mul_f32_e32 v68, v68, v4                                 // 0000000059D8: 0A880944
	v_mul_f32_e32 v69, v69, v5                                 // 0000000059DC: 0A8A0B45
	v_mul_f32_e32 v70, v70, v6                                 // 0000000059E0: 0A8C0D46
	v_mul_f32_e32 v71, v71, v7                                 // 0000000059E4: 0A8E0F47
	v_mul_f32_e32 v68, v68, v100                               // 0000000059E8: 0A88C944
	v_mul_f32_e32 v69, v69, v101                               // 0000000059EC: 0A8ACB45
	v_mul_f32_e32 v70, v70, v102                               // 0000000059F0: 0A8CCD46
	v_mul_f32_e32 v71, v71, v103                               // 0000000059F4: 0A8ECF47
	v_pk_mul_f32 v[4:5], v[72:73], v[72:73]                    // 0000000059F8: D3B14004 18029148
	v_pk_mul_f32 v[6:7], v[74:75], v[74:75]                    // 000000005A00: D3B14006 1802954A
	v_pk_fma_f32 v[4:5], v[4:5], s[78:79], v[8:9]              // 000000005A08: D3B04004 1C209D04
	v_pk_fma_f32 v[6:7], v[6:7], s[78:79], v[8:9]              // 000000005A10: D3B04006 1C209D06
	v_pk_mul_f32 v[4:5], v[4:5], v[72:73]                      // 000000005A18: D3B14004 18029104
	v_pk_mul_f32 v[6:7], v[6:7], v[74:75]                      // 000000005A20: D3B14006 18029506
	v_pk_mul_f32 v[4:5], v[4:5], s[60:61]                      // 000000005A28: D3B14004 18007904
	v_pk_mul_f32 v[6:7], v[6:7], s[60:61]                      // 000000005A30: D3B14006 18007906
	v_exp_f32_e32 v4, v4                                       // 000000005A38: 7E084104
	v_exp_f32_e32 v5, v5                                       // 000000005A3C: 7E0A4105
	v_exp_f32_e32 v6, v6                                       // 000000005A40: 7E0C4106
	v_exp_f32_e32 v7, v7                                       // 000000005A44: 7E0E4107
	v_add_f32_e64 v4, v4, 1.0                                  // 000000005A48: D1010004 0001E504
	v_add_f32_e64 v5, v5, 1.0                                  // 000000005A50: D1010005 0001E505
	v_add_f32_e64 v6, v6, 1.0                                  // 000000005A58: D1010006 0001E506
	v_add_f32_e64 v7, v7, 1.0                                  // 000000005A60: D1010007 0001E507
	v_rcp_f32_e32 v4, v4                                       // 000000005A68: 7E084504
	v_rcp_f32_e32 v5, v5                                       // 000000005A6C: 7E0A4505
	v_rcp_f32_e32 v6, v6                                       // 000000005A70: 7E0C4506
	v_rcp_f32_e32 v7, v7                                       // 000000005A74: 7E0E4507
	v_mul_f32_e32 v72, v72, v4                                 // 000000005A78: 0A900948
	v_mul_f32_e32 v73, v73, v5                                 // 000000005A7C: 0A920B49
	v_mul_f32_e32 v74, v74, v6                                 // 000000005A80: 0A940D4A
	v_mul_f32_e32 v75, v75, v7                                 // 000000005A84: 0A960F4B
	v_mul_f32_e32 v72, v72, v104                               // 000000005A88: 0A90D148
	v_mul_f32_e32 v73, v73, v105                               // 000000005A8C: 0A92D349
	v_mul_f32_e32 v74, v74, v106                               // 000000005A90: 0A94D54A
	v_mul_f32_e32 v75, v75, v107                               // 000000005A94: 0A96D74B
	v_pk_mul_f32 v[4:5], v[76:77], v[76:77]                    // 000000005A98: D3B14004 1802994C
	v_pk_mul_f32 v[6:7], v[78:79], v[78:79]                    // 000000005AA0: D3B14006 18029D4E
	v_pk_fma_f32 v[4:5], v[4:5], s[78:79], v[8:9]              // 000000005AA8: D3B04004 1C209D04
	v_pk_fma_f32 v[6:7], v[6:7], s[78:79], v[8:9]              // 000000005AB0: D3B04006 1C209D06
	v_pk_mul_f32 v[4:5], v[4:5], v[76:77]                      // 000000005AB8: D3B14004 18029904
	v_pk_mul_f32 v[6:7], v[6:7], v[78:79]                      // 000000005AC0: D3B14006 18029D06
	v_pk_mul_f32 v[4:5], v[4:5], s[60:61]                      // 000000005AC8: D3B14004 18007904
	v_pk_mul_f32 v[6:7], v[6:7], s[60:61]                      // 000000005AD0: D3B14006 18007906
	v_exp_f32_e32 v4, v4                                       // 000000005AD8: 7E084104
	v_exp_f32_e32 v5, v5                                       // 000000005ADC: 7E0A4105
	v_exp_f32_e32 v6, v6                                       // 000000005AE0: 7E0C4106
	v_exp_f32_e32 v7, v7                                       // 000000005AE4: 7E0E4107
	v_add_f32_e64 v4, v4, 1.0                                  // 000000005AE8: D1010004 0001E504
	v_add_f32_e64 v5, v5, 1.0                                  // 000000005AF0: D1010005 0001E505
	v_add_f32_e64 v6, v6, 1.0                                  // 000000005AF8: D1010006 0001E506
	v_add_f32_e64 v7, v7, 1.0                                  // 000000005B00: D1010007 0001E507
	v_rcp_f32_e32 v4, v4                                       // 000000005B08: 7E084504
	v_rcp_f32_e32 v5, v5                                       // 000000005B0C: 7E0A4505
	v_rcp_f32_e32 v6, v6                                       // 000000005B10: 7E0C4506
	v_rcp_f32_e32 v7, v7                                       // 000000005B14: 7E0E4507
	v_mul_f32_e32 v76, v76, v4                                 // 000000005B18: 0A98094C
	v_mul_f32_e32 v77, v77, v5                                 // 000000005B1C: 0A9A0B4D
	v_mul_f32_e32 v78, v78, v6                                 // 000000005B20: 0A9C0D4E
	v_mul_f32_e32 v79, v79, v7                                 // 000000005B24: 0A9E0F4F
	v_mul_f32_e32 v76, v76, v108                               // 000000005B28: 0A98D94C
	v_mul_f32_e32 v77, v77, v109                               // 000000005B2C: 0A9ADB4D
	v_mul_f32_e32 v78, v78, v110                               // 000000005B30: 0A9CDD4E
	v_mul_f32_e32 v79, v79, v111                               // 000000005B34: 0A9EDF4F
	v_pk_mul_f32 v[4:5], v[80:81], v[80:81]                    // 000000005B38: D3B14004 1802A150
	v_pk_mul_f32 v[6:7], v[82:83], v[82:83]                    // 000000005B40: D3B14006 1802A552
	v_pk_fma_f32 v[4:5], v[4:5], s[78:79], v[8:9]              // 000000005B48: D3B04004 1C209D04
	v_pk_fma_f32 v[6:7], v[6:7], s[78:79], v[8:9]              // 000000005B50: D3B04006 1C209D06
	v_pk_mul_f32 v[4:5], v[4:5], v[80:81]                      // 000000005B58: D3B14004 1802A104
	v_pk_mul_f32 v[6:7], v[6:7], v[82:83]                      // 000000005B60: D3B14006 1802A506
	v_pk_mul_f32 v[4:5], v[4:5], s[60:61]                      // 000000005B68: D3B14004 18007904
	v_pk_mul_f32 v[6:7], v[6:7], s[60:61]                      // 000000005B70: D3B14006 18007906
	v_exp_f32_e32 v4, v4                                       // 000000005B78: 7E084104
	v_exp_f32_e32 v5, v5                                       // 000000005B7C: 7E0A4105
	v_exp_f32_e32 v6, v6                                       // 000000005B80: 7E0C4106
	v_exp_f32_e32 v7, v7                                       // 000000005B84: 7E0E4107
	v_add_f32_e64 v4, v4, 1.0                                  // 000000005B88: D1010004 0001E504
	v_add_f32_e64 v5, v5, 1.0                                  // 000000005B90: D1010005 0001E505
	v_add_f32_e64 v6, v6, 1.0                                  // 000000005B98: D1010006 0001E506
	v_add_f32_e64 v7, v7, 1.0                                  // 000000005BA0: D1010007 0001E507
	v_rcp_f32_e32 v4, v4                                       // 000000005BA8: 7E084504
	v_rcp_f32_e32 v5, v5                                       // 000000005BAC: 7E0A4505
	v_rcp_f32_e32 v6, v6                                       // 000000005BB0: 7E0C4506
	v_rcp_f32_e32 v7, v7                                       // 000000005BB4: 7E0E4507
	v_mul_f32_e32 v80, v80, v4                                 // 000000005BB8: 0AA00950
	v_mul_f32_e32 v81, v81, v5                                 // 000000005BBC: 0AA20B51
	v_mul_f32_e32 v82, v82, v6                                 // 000000005BC0: 0AA40D52
	v_mul_f32_e32 v83, v83, v7                                 // 000000005BC4: 0AA60F53
	v_mul_f32_e32 v80, v80, v112                               // 000000005BC8: 0AA0E150
	v_mul_f32_e32 v81, v81, v113                               // 000000005BCC: 0AA2E351
	v_mul_f32_e32 v82, v82, v114                               // 000000005BD0: 0AA4E552
	v_mul_f32_e32 v83, v83, v115                               // 000000005BD4: 0AA6E753
	v_pk_mul_f32 v[4:5], v[84:85], v[84:85]                    // 000000005BD8: D3B14004 1802A954
	v_pk_mul_f32 v[6:7], v[86:87], v[86:87]                    // 000000005BE0: D3B14006 1802AD56
	v_pk_fma_f32 v[4:5], v[4:5], s[78:79], v[8:9]              // 000000005BE8: D3B04004 1C209D04
	v_pk_fma_f32 v[6:7], v[6:7], s[78:79], v[8:9]              // 000000005BF0: D3B04006 1C209D06
	v_pk_mul_f32 v[4:5], v[4:5], v[84:85]                      // 000000005BF8: D3B14004 1802A904
	v_pk_mul_f32 v[6:7], v[6:7], v[86:87]                      // 000000005C00: D3B14006 1802AD06
	v_pk_mul_f32 v[4:5], v[4:5], s[60:61]                      // 000000005C08: D3B14004 18007904
	v_pk_mul_f32 v[6:7], v[6:7], s[60:61]                      // 000000005C10: D3B14006 18007906
	v_exp_f32_e32 v4, v4                                       // 000000005C18: 7E084104
	v_exp_f32_e32 v5, v5                                       // 000000005C1C: 7E0A4105
	v_exp_f32_e32 v6, v6                                       // 000000005C20: 7E0C4106
	v_exp_f32_e32 v7, v7                                       // 000000005C24: 7E0E4107
	v_add_f32_e64 v4, v4, 1.0                                  // 000000005C28: D1010004 0001E504
	v_add_f32_e64 v5, v5, 1.0                                  // 000000005C30: D1010005 0001E505
	v_add_f32_e64 v6, v6, 1.0                                  // 000000005C38: D1010006 0001E506
	v_add_f32_e64 v7, v7, 1.0                                  // 000000005C40: D1010007 0001E507
	v_rcp_f32_e32 v4, v4                                       // 000000005C48: 7E084504
	v_rcp_f32_e32 v5, v5                                       // 000000005C4C: 7E0A4505
	v_rcp_f32_e32 v6, v6                                       // 000000005C50: 7E0C4506
	v_rcp_f32_e32 v7, v7                                       // 000000005C54: 7E0E4507
	v_mul_f32_e32 v84, v84, v4                                 // 000000005C58: 0AA80954
	v_mul_f32_e32 v85, v85, v5                                 // 000000005C5C: 0AAA0B55
	v_mul_f32_e32 v86, v86, v6                                 // 000000005C60: 0AAC0D56
	v_mul_f32_e32 v87, v87, v7                                 // 000000005C64: 0AAE0F57
	v_mul_f32_e32 v84, v84, v116                               // 000000005C68: 0AA8E954
	v_mul_f32_e32 v85, v85, v117                               // 000000005C6C: 0AAAEB55
	v_mul_f32_e32 v86, v86, v118                               // 000000005C70: 0AACED56
	v_mul_f32_e32 v87, v87, v119                               // 000000005C74: 0AAEEF57
	s_branch label_0D9F                                        // 000000005C78: BF820100

0000000000005c7c <label_0C9F>:
	v_mul_f32_e64 v4, -v56, s6                                 // 000000005C7C: D1050004 20000D38
	v_mul_f32_e64 v5, -v57, s6                                 // 000000005C84: D1050005 20000D39
	v_mul_f32_e64 v6, -v58, s6                                 // 000000005C8C: D1050006 20000D3A
	v_mul_f32_e64 v7, -v59, s6                                 // 000000005C94: D1050007 20000D3B
	v_exp_f32_e32 v4, v4                                       // 000000005C9C: 7E084104
	v_exp_f32_e32 v5, v5                                       // 000000005CA0: 7E0A4105
	v_exp_f32_e32 v6, v6                                       // 000000005CA4: 7E0C4106
	v_exp_f32_e32 v7, v7                                       // 000000005CA8: 7E0E4107
	v_add_f32_e64 v4, v4, 1.0                                  // 000000005CAC: D1010004 0001E504
	v_add_f32_e64 v5, v5, 1.0                                  // 000000005CB4: D1010005 0001E505
	v_add_f32_e64 v6, v6, 1.0                                  // 000000005CBC: D1010006 0001E506
	v_add_f32_e64 v7, v7, 1.0                                  // 000000005CC4: D1010007 0001E507
	v_rcp_f32_e32 v4, v4                                       // 000000005CCC: 7E084504
	v_rcp_f32_e32 v5, v5                                       // 000000005CD0: 7E0A4505
	v_rcp_f32_e32 v6, v6                                       // 000000005CD4: 7E0C4506
	v_rcp_f32_e32 v7, v7                                       // 000000005CD8: 7E0E4507
	v_mul_f32_e32 v56, v56, v4                                 // 000000005CDC: 0A700938
	v_mul_f32_e32 v57, v57, v5                                 // 000000005CE0: 0A720B39
	v_mul_f32_e32 v58, v58, v6                                 // 000000005CE4: 0A740D3A
	v_mul_f32_e32 v59, v59, v7                                 // 000000005CE8: 0A760F3B
	v_mul_f32_e32 v56, v56, v88                                // 000000005CEC: 0A70B138
	v_mul_f32_e32 v57, v57, v89                                // 000000005CF0: 0A72B339
	v_mul_f32_e32 v58, v58, v90                                // 000000005CF4: 0A74B53A
	v_mul_f32_e32 v59, v59, v91                                // 000000005CF8: 0A76B73B
	v_mul_f32_e64 v4, -v60, s6                                 // 000000005CFC: D1050004 20000D3C
	v_mul_f32_e64 v5, -v61, s6                                 // 000000005D04: D1050005 20000D3D
	v_mul_f32_e64 v6, -v62, s6                                 // 000000005D0C: D1050006 20000D3E
	v_mul_f32_e64 v7, -v63, s6                                 // 000000005D14: D1050007 20000D3F
	v_exp_f32_e32 v4, v4                                       // 000000005D1C: 7E084104
	v_exp_f32_e32 v5, v5                                       // 000000005D20: 7E0A4105
	v_exp_f32_e32 v6, v6                                       // 000000005D24: 7E0C4106
	v_exp_f32_e32 v7, v7                                       // 000000005D28: 7E0E4107
	v_add_f32_e64 v4, v4, 1.0                                  // 000000005D2C: D1010004 0001E504
	v_add_f32_e64 v5, v5, 1.0                                  // 000000005D34: D1010005 0001E505
	v_add_f32_e64 v6, v6, 1.0                                  // 000000005D3C: D1010006 0001E506
	v_add_f32_e64 v7, v7, 1.0                                  // 000000005D44: D1010007 0001E507
	v_rcp_f32_e32 v4, v4                                       // 000000005D4C: 7E084504
	v_rcp_f32_e32 v5, v5                                       // 000000005D50: 7E0A4505
	v_rcp_f32_e32 v6, v6                                       // 000000005D54: 7E0C4506
	v_rcp_f32_e32 v7, v7                                       // 000000005D58: 7E0E4507
	v_mul_f32_e32 v60, v60, v4                                 // 000000005D5C: 0A78093C
	v_mul_f32_e32 v61, v61, v5                                 // 000000005D60: 0A7A0B3D
	v_mul_f32_e32 v62, v62, v6                                 // 000000005D64: 0A7C0D3E
	v_mul_f32_e32 v63, v63, v7                                 // 000000005D68: 0A7E0F3F
	v_mul_f32_e32 v60, v60, v92                                // 000000005D6C: 0A78B93C
	v_mul_f32_e32 v61, v61, v93                                // 000000005D70: 0A7ABB3D
	v_mul_f32_e32 v62, v62, v94                                // 000000005D74: 0A7CBD3E
	v_mul_f32_e32 v63, v63, v95                                // 000000005D78: 0A7EBF3F
	v_mul_f32_e64 v4, -v64, s6                                 // 000000005D7C: D1050004 20000D40
	v_mul_f32_e64 v5, -v65, s6                                 // 000000005D84: D1050005 20000D41
	v_mul_f32_e64 v6, -v66, s6                                 // 000000005D8C: D1050006 20000D42
	v_mul_f32_e64 v7, -v67, s6                                 // 000000005D94: D1050007 20000D43
	v_exp_f32_e32 v4, v4                                       // 000000005D9C: 7E084104
	v_exp_f32_e32 v5, v5                                       // 000000005DA0: 7E0A4105
	v_exp_f32_e32 v6, v6                                       // 000000005DA4: 7E0C4106
	v_exp_f32_e32 v7, v7                                       // 000000005DA8: 7E0E4107
	v_add_f32_e64 v4, v4, 1.0                                  // 000000005DAC: D1010004 0001E504
	v_add_f32_e64 v5, v5, 1.0                                  // 000000005DB4: D1010005 0001E505
	v_add_f32_e64 v6, v6, 1.0                                  // 000000005DBC: D1010006 0001E506
	v_add_f32_e64 v7, v7, 1.0                                  // 000000005DC4: D1010007 0001E507
	v_rcp_f32_e32 v4, v4                                       // 000000005DCC: 7E084504
	v_rcp_f32_e32 v5, v5                                       // 000000005DD0: 7E0A4505
	v_rcp_f32_e32 v6, v6                                       // 000000005DD4: 7E0C4506
	v_rcp_f32_e32 v7, v7                                       // 000000005DD8: 7E0E4507
	v_mul_f32_e32 v64, v64, v4                                 // 000000005DDC: 0A800940
	v_mul_f32_e32 v65, v65, v5                                 // 000000005DE0: 0A820B41
	v_mul_f32_e32 v66, v66, v6                                 // 000000005DE4: 0A840D42
	v_mul_f32_e32 v67, v67, v7                                 // 000000005DE8: 0A860F43
	v_mul_f32_e32 v64, v64, v96                                // 000000005DEC: 0A80C140
	v_mul_f32_e32 v65, v65, v97                                // 000000005DF0: 0A82C341
	v_mul_f32_e32 v66, v66, v98                                // 000000005DF4: 0A84C542
	v_mul_f32_e32 v67, v67, v99                                // 000000005DF8: 0A86C743
	v_mul_f32_e64 v4, -v68, s6                                 // 000000005DFC: D1050004 20000D44
	v_mul_f32_e64 v5, -v69, s6                                 // 000000005E04: D1050005 20000D45
	v_mul_f32_e64 v6, -v70, s6                                 // 000000005E0C: D1050006 20000D46
	v_mul_f32_e64 v7, -v71, s6                                 // 000000005E14: D1050007 20000D47
	v_exp_f32_e32 v4, v4                                       // 000000005E1C: 7E084104
	v_exp_f32_e32 v5, v5                                       // 000000005E20: 7E0A4105
	v_exp_f32_e32 v6, v6                                       // 000000005E24: 7E0C4106
	v_exp_f32_e32 v7, v7                                       // 000000005E28: 7E0E4107
	v_add_f32_e64 v4, v4, 1.0                                  // 000000005E2C: D1010004 0001E504
	v_add_f32_e64 v5, v5, 1.0                                  // 000000005E34: D1010005 0001E505
	v_add_f32_e64 v6, v6, 1.0                                  // 000000005E3C: D1010006 0001E506
	v_add_f32_e64 v7, v7, 1.0                                  // 000000005E44: D1010007 0001E507
	v_rcp_f32_e32 v4, v4                                       // 000000005E4C: 7E084504
	v_rcp_f32_e32 v5, v5                                       // 000000005E50: 7E0A4505
	v_rcp_f32_e32 v6, v6                                       // 000000005E54: 7E0C4506
	v_rcp_f32_e32 v7, v7                                       // 000000005E58: 7E0E4507
	v_mul_f32_e32 v68, v68, v4                                 // 000000005E5C: 0A880944
	v_mul_f32_e32 v69, v69, v5                                 // 000000005E60: 0A8A0B45
	v_mul_f32_e32 v70, v70, v6                                 // 000000005E64: 0A8C0D46
	v_mul_f32_e32 v71, v71, v7                                 // 000000005E68: 0A8E0F47
	v_mul_f32_e32 v68, v68, v100                               // 000000005E6C: 0A88C944
	v_mul_f32_e32 v69, v69, v101                               // 000000005E70: 0A8ACB45
	v_mul_f32_e32 v70, v70, v102                               // 000000005E74: 0A8CCD46
	v_mul_f32_e32 v71, v71, v103                               // 000000005E78: 0A8ECF47
	v_mul_f32_e64 v4, -v72, s6                                 // 000000005E7C: D1050004 20000D48
	v_mul_f32_e64 v5, -v73, s6                                 // 000000005E84: D1050005 20000D49
	v_mul_f32_e64 v6, -v74, s6                                 // 000000005E8C: D1050006 20000D4A
	v_mul_f32_e64 v7, -v75, s6                                 // 000000005E94: D1050007 20000D4B
	v_exp_f32_e32 v4, v4                                       // 000000005E9C: 7E084104
	v_exp_f32_e32 v5, v5                                       // 000000005EA0: 7E0A4105
	v_exp_f32_e32 v6, v6                                       // 000000005EA4: 7E0C4106
	v_exp_f32_e32 v7, v7                                       // 000000005EA8: 7E0E4107
	v_add_f32_e64 v4, v4, 1.0                                  // 000000005EAC: D1010004 0001E504
	v_add_f32_e64 v5, v5, 1.0                                  // 000000005EB4: D1010005 0001E505
	v_add_f32_e64 v6, v6, 1.0                                  // 000000005EBC: D1010006 0001E506
	v_add_f32_e64 v7, v7, 1.0                                  // 000000005EC4: D1010007 0001E507
	v_rcp_f32_e32 v4, v4                                       // 000000005ECC: 7E084504
	v_rcp_f32_e32 v5, v5                                       // 000000005ED0: 7E0A4505
	v_rcp_f32_e32 v6, v6                                       // 000000005ED4: 7E0C4506
	v_rcp_f32_e32 v7, v7                                       // 000000005ED8: 7E0E4507
	v_mul_f32_e32 v72, v72, v4                                 // 000000005EDC: 0A900948
	v_mul_f32_e32 v73, v73, v5                                 // 000000005EE0: 0A920B49
	v_mul_f32_e32 v74, v74, v6                                 // 000000005EE4: 0A940D4A
	v_mul_f32_e32 v75, v75, v7                                 // 000000005EE8: 0A960F4B
	v_mul_f32_e32 v72, v72, v104                               // 000000005EEC: 0A90D148
	v_mul_f32_e32 v73, v73, v105                               // 000000005EF0: 0A92D349
	v_mul_f32_e32 v74, v74, v106                               // 000000005EF4: 0A94D54A
	v_mul_f32_e32 v75, v75, v107                               // 000000005EF8: 0A96D74B
	v_mul_f32_e64 v4, -v76, s6                                 // 000000005EFC: D1050004 20000D4C
	v_mul_f32_e64 v5, -v77, s6                                 // 000000005F04: D1050005 20000D4D
	v_mul_f32_e64 v6, -v78, s6                                 // 000000005F0C: D1050006 20000D4E
	v_mul_f32_e64 v7, -v79, s6                                 // 000000005F14: D1050007 20000D4F
	v_exp_f32_e32 v4, v4                                       // 000000005F1C: 7E084104
	v_exp_f32_e32 v5, v5                                       // 000000005F20: 7E0A4105
	v_exp_f32_e32 v6, v6                                       // 000000005F24: 7E0C4106
	v_exp_f32_e32 v7, v7                                       // 000000005F28: 7E0E4107
	v_add_f32_e64 v4, v4, 1.0                                  // 000000005F2C: D1010004 0001E504
	v_add_f32_e64 v5, v5, 1.0                                  // 000000005F34: D1010005 0001E505
	v_add_f32_e64 v6, v6, 1.0                                  // 000000005F3C: D1010006 0001E506
	v_add_f32_e64 v7, v7, 1.0                                  // 000000005F44: D1010007 0001E507
	v_rcp_f32_e32 v4, v4                                       // 000000005F4C: 7E084504
	v_rcp_f32_e32 v5, v5                                       // 000000005F50: 7E0A4505
	v_rcp_f32_e32 v6, v6                                       // 000000005F54: 7E0C4506
	v_rcp_f32_e32 v7, v7                                       // 000000005F58: 7E0E4507
	v_mul_f32_e32 v76, v76, v4                                 // 000000005F5C: 0A98094C
	v_mul_f32_e32 v77, v77, v5                                 // 000000005F60: 0A9A0B4D
	v_mul_f32_e32 v78, v78, v6                                 // 000000005F64: 0A9C0D4E
	v_mul_f32_e32 v79, v79, v7                                 // 000000005F68: 0A9E0F4F
	v_mul_f32_e32 v76, v76, v108                               // 000000005F6C: 0A98D94C
	v_mul_f32_e32 v77, v77, v109                               // 000000005F70: 0A9ADB4D
	v_mul_f32_e32 v78, v78, v110                               // 000000005F74: 0A9CDD4E
	v_mul_f32_e32 v79, v79, v111                               // 000000005F78: 0A9EDF4F
	v_mul_f32_e64 v4, -v80, s6                                 // 000000005F7C: D1050004 20000D50
	v_mul_f32_e64 v5, -v81, s6                                 // 000000005F84: D1050005 20000D51
	v_mul_f32_e64 v6, -v82, s6                                 // 000000005F8C: D1050006 20000D52
	v_mul_f32_e64 v7, -v83, s6                                 // 000000005F94: D1050007 20000D53
	v_exp_f32_e32 v4, v4                                       // 000000005F9C: 7E084104
	v_exp_f32_e32 v5, v5                                       // 000000005FA0: 7E0A4105
	v_exp_f32_e32 v6, v6                                       // 000000005FA4: 7E0C4106
	v_exp_f32_e32 v7, v7                                       // 000000005FA8: 7E0E4107
	v_add_f32_e64 v4, v4, 1.0                                  // 000000005FAC: D1010004 0001E504
	v_add_f32_e64 v5, v5, 1.0                                  // 000000005FB4: D1010005 0001E505
	v_add_f32_e64 v6, v6, 1.0                                  // 000000005FBC: D1010006 0001E506
	v_add_f32_e64 v7, v7, 1.0                                  // 000000005FC4: D1010007 0001E507
	v_rcp_f32_e32 v4, v4                                       // 000000005FCC: 7E084504
	v_rcp_f32_e32 v5, v5                                       // 000000005FD0: 7E0A4505
	v_rcp_f32_e32 v6, v6                                       // 000000005FD4: 7E0C4506
	v_rcp_f32_e32 v7, v7                                       // 000000005FD8: 7E0E4507
	v_mul_f32_e32 v80, v80, v4                                 // 000000005FDC: 0AA00950
	v_mul_f32_e32 v81, v81, v5                                 // 000000005FE0: 0AA20B51
	v_mul_f32_e32 v82, v82, v6                                 // 000000005FE4: 0AA40D52
	v_mul_f32_e32 v83, v83, v7                                 // 000000005FE8: 0AA60F53
	v_mul_f32_e32 v80, v80, v112                               // 000000005FEC: 0AA0E150
	v_mul_f32_e32 v81, v81, v113                               // 000000005FF0: 0AA2E351
	v_mul_f32_e32 v82, v82, v114                               // 000000005FF4: 0AA4E552
	v_mul_f32_e32 v83, v83, v115                               // 000000005FF8: 0AA6E753
	v_mul_f32_e64 v4, -v84, s6                                 // 000000005FFC: D1050004 20000D54
	v_mul_f32_e64 v5, -v85, s6                                 // 000000006004: D1050005 20000D55
	v_mul_f32_e64 v6, -v86, s6                                 // 00000000600C: D1050006 20000D56
	v_mul_f32_e64 v7, -v87, s6                                 // 000000006014: D1050007 20000D57
	v_exp_f32_e32 v4, v4                                       // 00000000601C: 7E084104
	v_exp_f32_e32 v5, v5                                       // 000000006020: 7E0A4105
	v_exp_f32_e32 v6, v6                                       // 000000006024: 7E0C4106
	v_exp_f32_e32 v7, v7                                       // 000000006028: 7E0E4107
	v_add_f32_e64 v4, v4, 1.0                                  // 00000000602C: D1010004 0001E504
	v_add_f32_e64 v5, v5, 1.0                                  // 000000006034: D1010005 0001E505
	v_add_f32_e64 v6, v6, 1.0                                  // 00000000603C: D1010006 0001E506
	v_add_f32_e64 v7, v7, 1.0                                  // 000000006044: D1010007 0001E507
	v_rcp_f32_e32 v4, v4                                       // 00000000604C: 7E084504
	v_rcp_f32_e32 v5, v5                                       // 000000006050: 7E0A4505
	v_rcp_f32_e32 v6, v6                                       // 000000006054: 7E0C4506
	v_rcp_f32_e32 v7, v7                                       // 000000006058: 7E0E4507
	v_mul_f32_e32 v84, v84, v4                                 // 00000000605C: 0AA80954
	v_mul_f32_e32 v85, v85, v5                                 // 000000006060: 0AAA0B55
	v_mul_f32_e32 v86, v86, v6                                 // 000000006064: 0AAC0D56
	v_mul_f32_e32 v87, v87, v7                                 // 000000006068: 0AAE0F57
	v_mul_f32_e32 v84, v84, v116                               // 00000000606C: 0AA8E954
	v_mul_f32_e32 v85, v85, v117                               // 000000006070: 0AAAEB55
	v_mul_f32_e32 v86, v86, v118                               // 000000006074: 0AACED56
	v_mul_f32_e32 v87, v87, v119                               // 000000006078: 0AAEEF57

000000000000607c <label_0D9F>:
	s_cmp_eq_u32 s7, 0                                         // 00000000607C: BF068007
	s_cbranch_scc0 label_0DAF                                  // 000000006080: BF84000E
	v_and_b32_e32 v4, 15, v0                                   // 000000006084: 2608008F
	v_lshlrev_b32_e32 v4, 2, v4                                // 000000006088: 24080882
	buffer_load_dword v30, v4, s[12:15], 0 offen               // 00000000608C: E0501000 80031E04
	v_add_u32_e32 v4, 64, v4                                   // 000000006094: 680808C0
	buffer_load_dword v31, v4, s[12:15], 0 offen               // 000000006098: E0501000 80031F04
	v_add_u32_e32 v4, 64, v4                                   // 0000000060A0: 680808C0
	buffer_load_dword v32, v4, s[12:15], 0 offen               // 0000000060A4: E0501000 80032004
	v_add_u32_e32 v4, 64, v4                                   // 0000000060AC: 680808C0
	buffer_load_dword v33, v4, s[12:15], 0 offen               // 0000000060B0: E0501000 80032104
	v_add_u32_e32 v4, 64, v4                                   // 0000000060B8: 680808C0

00000000000060bc <label_0DAF>:
	v_lshlrev_b32_e32 v4, 2, v0                                // 0000000060BC: 24080082
	s_mul_i32 s60, 0x100, s7                                   // 0000000060C0: 923C07FF 00000100
	v_add_u32_e32 v92, s60, v4                                 // 0000000060C8: 68B8083C
	v_and_b32_e32 v4, 15, v0                                   // 0000000060CC: 2608008F
	v_lshlrev_b32_e32 v93, 2, v4                               // 0000000060D0: 24BA0882
	s_waitcnt lgkmcnt(0)                                       // 0000000060D4: BF8CC07F
	s_barrier                                                  // 0000000060D8: BF8A0000
	v_mov_b32_e32 v88, 0x358637bd                              // 0000000060DC: 7EB002FF 358637BD
	v_max3_f32 v88, |v56|, |v57|, v88                          // 0000000060E4: D1D30358 05627338
	v_max3_f32 v88, |v58|, |v59|, v88                          // 0000000060EC: D1D30358 0562773A
	v_max3_f32 v88, |v72|, |v73|, v88                          // 0000000060F4: D1D30358 05629348
	v_max3_f32 v88, |v74|, |v75|, v88                          // 0000000060FC: D1D30358 0562974A
	ds_write_b32 v92, v88                                      // 000000006104: D81A0000 0000585C
	s_waitcnt lgkmcnt(0)                                       // 00000000610C: BF8CC07F
	s_barrier                                                  // 000000006110: BF8A0000
	ds_read_b32 v4, v93                                        // 000000006114: D86C0000 0400005D
	ds_read_b32 v5, v93 offset:64                              // 00000000611C: D86C0040 0500005D
	ds_read_b32 v6, v93 offset:128                             // 000000006124: D86C0080 0600005D
	ds_read_b32 v7, v93 offset:192                             // 00000000612C: D86C00C0 0700005D
	ds_read_b32 v8, v93 offset:256                             // 000000006134: D86C0100 0800005D
	ds_read_b32 v9, v93 offset:320                             // 00000000613C: D86C0140 0900005D
	ds_read_b32 v10, v93 offset:384                            // 000000006144: D86C0180 0A00005D
	ds_read_b32 v11, v93 offset:448                            // 00000000614C: D86C01C0 0B00005D
	ds_read_b32 v12, v93 offset:512                            // 000000006154: D86C0200 0C00005D
	ds_read_b32 v13, v93 offset:576                            // 00000000615C: D86C0240 0D00005D
	ds_read_b32 v14, v93 offset:640                            // 000000006164: D86C0280 0E00005D
	ds_read_b32 v15, v93 offset:704                            // 00000000616C: D86C02C0 0F00005D
	ds_read_b32 v16, v93 offset:768                            // 000000006174: D86C0300 1000005D
	ds_read_b32 v17, v93 offset:832                            // 00000000617C: D86C0340 1100005D
	ds_read_b32 v18, v93 offset:896                            // 000000006184: D86C0380 1200005D
	ds_read_b32 v19, v93 offset:960                            // 00000000618C: D86C03C0 1300005D
	s_waitcnt lgkmcnt(0)                                       // 000000006194: BF8CC07F
	s_barrier                                                  // 000000006198: BF8A0000
	v_max3_f32 v88, |v4|, |v5|, v88                            // 00000000619C: D1D30358 05620B04
	v_max3_f32 v88, |v6|, |v7|, v88                            // 0000000061A4: D1D30358 05620F06
	v_max3_f32 v88, |v8|, |v9|, v88                            // 0000000061AC: D1D30358 05621308
	v_max3_f32 v88, |v10|, |v11|, v88                          // 0000000061B4: D1D30358 0562170A
	v_max3_f32 v88, |v12|, |v13|, v88                          // 0000000061BC: D1D30358 05621B0C
	v_max3_f32 v88, |v14|, |v15|, v88                          // 0000000061C4: D1D30358 05621F0E
	v_max3_f32 v88, |v16|, |v17|, v88                          // 0000000061CC: D1D30358 05622310
	v_max3_f32 v88, |v18|, |v19|, v88                          // 0000000061D4: D1D30358 05622712
	v_rcp_f32_e32 v88, v88                                     // 0000000061DC: 7EB04558
	v_mov_b32_e32 v4, 0x43700000                               // 0000000061E0: 7E0802FF 43700000
	v_mul_f32_e32 v88, v4, v88                                 // 0000000061E8: 0AB0B104
	v_mov_b32_e32 v4, v88                                      // 0000000061EC: 7E080358
	v_mov_b32_e32 v5, v4                                       // 0000000061F0: 7E0A0304
	v_pk_mul_f32 v[56:57], v[4:5], v[56:57]                    // 0000000061F4: D3B14038 18027104
	v_pk_mul_f32 v[58:59], v[4:5], v[58:59]                    // 0000000061FC: D3B1403A 18027504
	v_cvt_pk_fp8_f32 v56, v56, v57                             // 000000006204: D2A20038 00027338
	v_cvt_pk_fp8_f32 v56, v58, v59 op_sel:[0,0,1]              // 00000000620C: D2A24038 0002773A
	v_pk_mul_f32 v[72:73], v[4:5], v[72:73]                    // 000000006214: D3B14048 18029104
	v_pk_mul_f32 v[74:75], v[4:5], v[74:75]                    // 00000000621C: D3B1404A 18029504
	v_cvt_pk_fp8_f32 v72, v72, v73                             // 000000006224: D2A20048 00029348
	v_cvt_pk_fp8_f32 v72, v74, v75 op_sel:[0,0,1]              // 00000000622C: D2A24048 0002974A
	v_rcp_f32_e32 v88, v88                                     // 000000006234: 7EB04558
	v_mov_b32_e32 v89, 0x358637bd                              // 000000006238: 7EB202FF 358637BD
	v_max3_f32 v89, |v60|, |v61|, v89                          // 000000006240: D1D30359 05667B3C
	v_max3_f32 v89, |v62|, |v63|, v89                          // 000000006248: D1D30359 05667F3E
	v_max3_f32 v89, |v76|, |v77|, v89                          // 000000006250: D1D30359 05669B4C
	v_max3_f32 v89, |v78|, |v79|, v89                          // 000000006258: D1D30359 05669F4E
	ds_write_b32 v92, v89                                      // 000000006260: D81A0000 0000595C
	s_waitcnt lgkmcnt(0)                                       // 000000006268: BF8CC07F
	s_barrier                                                  // 00000000626C: BF8A0000
	ds_read_b32 v4, v93                                        // 000000006270: D86C0000 0400005D
	ds_read_b32 v5, v93 offset:64                              // 000000006278: D86C0040 0500005D
	ds_read_b32 v6, v93 offset:128                             // 000000006280: D86C0080 0600005D
	ds_read_b32 v7, v93 offset:192                             // 000000006288: D86C00C0 0700005D
	ds_read_b32 v8, v93 offset:256                             // 000000006290: D86C0100 0800005D
	ds_read_b32 v9, v93 offset:320                             // 000000006298: D86C0140 0900005D
	ds_read_b32 v10, v93 offset:384                            // 0000000062A0: D86C0180 0A00005D
	ds_read_b32 v11, v93 offset:448                            // 0000000062A8: D86C01C0 0B00005D
	ds_read_b32 v12, v93 offset:512                            // 0000000062B0: D86C0200 0C00005D
	ds_read_b32 v13, v93 offset:576                            // 0000000062B8: D86C0240 0D00005D
	ds_read_b32 v14, v93 offset:640                            // 0000000062C0: D86C0280 0E00005D
	ds_read_b32 v15, v93 offset:704                            // 0000000062C8: D86C02C0 0F00005D
	ds_read_b32 v16, v93 offset:768                            // 0000000062D0: D86C0300 1000005D
	ds_read_b32 v17, v93 offset:832                            // 0000000062D8: D86C0340 1100005D
	ds_read_b32 v18, v93 offset:896                            // 0000000062E0: D86C0380 1200005D
	ds_read_b32 v19, v93 offset:960                            // 0000000062E8: D86C03C0 1300005D
	s_waitcnt lgkmcnt(0)                                       // 0000000062F0: BF8CC07F
	s_barrier                                                  // 0000000062F4: BF8A0000
	v_max3_f32 v89, |v4|, |v5|, v89                            // 0000000062F8: D1D30359 05660B04
	v_max3_f32 v89, |v6|, |v7|, v89                            // 000000006300: D1D30359 05660F06
	v_max3_f32 v89, |v8|, |v9|, v89                            // 000000006308: D1D30359 05661308
	v_max3_f32 v89, |v10|, |v11|, v89                          // 000000006310: D1D30359 0566170A
	v_max3_f32 v89, |v12|, |v13|, v89                          // 000000006318: D1D30359 05661B0C
	v_max3_f32 v89, |v14|, |v15|, v89                          // 000000006320: D1D30359 05661F0E
	v_max3_f32 v89, |v16|, |v17|, v89                          // 000000006328: D1D30359 05662310
	v_max3_f32 v89, |v18|, |v19|, v89                          // 000000006330: D1D30359 05662712
	v_rcp_f32_e32 v89, v89                                     // 000000006338: 7EB24559
	v_mov_b32_e32 v4, 0x43700000                               // 00000000633C: 7E0802FF 43700000
	v_mul_f32_e32 v89, v4, v89                                 // 000000006344: 0AB2B304
	v_mov_b32_e32 v4, v89                                      // 000000006348: 7E080359
	v_mov_b32_e32 v5, v4                                       // 00000000634C: 7E0A0304
	v_pk_mul_f32 v[60:61], v[4:5], v[60:61]                    // 000000006350: D3B1403C 18027904
	v_pk_mul_f32 v[62:63], v[4:5], v[62:63]                    // 000000006358: D3B1403E 18027D04
	v_cvt_pk_fp8_f32 v60, v60, v61                             // 000000006360: D2A2003C 00027B3C
	v_cvt_pk_fp8_f32 v60, v62, v63 op_sel:[0,0,1]              // 000000006368: D2A2403C 00027F3E
	v_pk_mul_f32 v[76:77], v[4:5], v[76:77]                    // 000000006370: D3B1404C 18029904
	v_pk_mul_f32 v[78:79], v[4:5], v[78:79]                    // 000000006378: D3B1404E 18029D04
	v_cvt_pk_fp8_f32 v76, v76, v77                             // 000000006380: D2A2004C 00029B4C
	v_cvt_pk_fp8_f32 v76, v78, v79 op_sel:[0,0,1]              // 000000006388: D2A2404C 00029F4E
	v_rcp_f32_e32 v89, v89                                     // 000000006390: 7EB24559
	v_mov_b32_e32 v90, 0x358637bd                              // 000000006394: 7EB402FF 358637BD
	v_max3_f32 v90, |v64|, |v65|, v90                          // 00000000639C: D1D3035A 056A8340
	v_max3_f32 v90, |v66|, |v67|, v90                          // 0000000063A4: D1D3035A 056A8742
	v_max3_f32 v90, |v80|, |v81|, v90                          // 0000000063AC: D1D3035A 056AA350
	v_max3_f32 v90, |v82|, |v83|, v90                          // 0000000063B4: D1D3035A 056AA752
	ds_write_b32 v92, v90                                      // 0000000063BC: D81A0000 00005A5C
	s_waitcnt lgkmcnt(0)                                       // 0000000063C4: BF8CC07F
	s_barrier                                                  // 0000000063C8: BF8A0000
	ds_read_b32 v4, v93                                        // 0000000063CC: D86C0000 0400005D
	ds_read_b32 v5, v93 offset:64                              // 0000000063D4: D86C0040 0500005D
	ds_read_b32 v6, v93 offset:128                             // 0000000063DC: D86C0080 0600005D
	ds_read_b32 v7, v93 offset:192                             // 0000000063E4: D86C00C0 0700005D
	ds_read_b32 v8, v93 offset:256                             // 0000000063EC: D86C0100 0800005D
	ds_read_b32 v9, v93 offset:320                             // 0000000063F4: D86C0140 0900005D
	ds_read_b32 v10, v93 offset:384                            // 0000000063FC: D86C0180 0A00005D
	ds_read_b32 v11, v93 offset:448                            // 000000006404: D86C01C0 0B00005D
	ds_read_b32 v12, v93 offset:512                            // 00000000640C: D86C0200 0C00005D
	ds_read_b32 v13, v93 offset:576                            // 000000006414: D86C0240 0D00005D
	ds_read_b32 v14, v93 offset:640                            // 00000000641C: D86C0280 0E00005D
	ds_read_b32 v15, v93 offset:704                            // 000000006424: D86C02C0 0F00005D
	ds_read_b32 v16, v93 offset:768                            // 00000000642C: D86C0300 1000005D
	ds_read_b32 v17, v93 offset:832                            // 000000006434: D86C0340 1100005D
	ds_read_b32 v18, v93 offset:896                            // 00000000643C: D86C0380 1200005D
	ds_read_b32 v19, v93 offset:960                            // 000000006444: D86C03C0 1300005D
	s_waitcnt lgkmcnt(0)                                       // 00000000644C: BF8CC07F
	s_barrier                                                  // 000000006450: BF8A0000
	v_max3_f32 v90, |v4|, |v5|, v90                            // 000000006454: D1D3035A 056A0B04
	v_max3_f32 v90, |v6|, |v7|, v90                            // 00000000645C: D1D3035A 056A0F06
	v_max3_f32 v90, |v8|, |v9|, v90                            // 000000006464: D1D3035A 056A1308
	v_max3_f32 v90, |v10|, |v11|, v90                          // 00000000646C: D1D3035A 056A170A
	v_max3_f32 v90, |v12|, |v13|, v90                          // 000000006474: D1D3035A 056A1B0C
	v_max3_f32 v90, |v14|, |v15|, v90                          // 00000000647C: D1D3035A 056A1F0E
	v_max3_f32 v90, |v16|, |v17|, v90                          // 000000006484: D1D3035A 056A2310
	v_max3_f32 v90, |v18|, |v19|, v90                          // 00000000648C: D1D3035A 056A2712
	v_rcp_f32_e32 v90, v90                                     // 000000006494: 7EB4455A
	v_mov_b32_e32 v4, 0x43700000                               // 000000006498: 7E0802FF 43700000
	v_mul_f32_e32 v90, v4, v90                                 // 0000000064A0: 0AB4B504
	v_mov_b32_e32 v4, v90                                      // 0000000064A4: 7E08035A
	v_mov_b32_e32 v5, v4                                       // 0000000064A8: 7E0A0304
	v_pk_mul_f32 v[64:65], v[4:5], v[64:65]                    // 0000000064AC: D3B14040 18028104
	v_pk_mul_f32 v[66:67], v[4:5], v[66:67]                    // 0000000064B4: D3B14042 18028504
	v_cvt_pk_fp8_f32 v64, v64, v65                             // 0000000064BC: D2A20040 00028340
	v_cvt_pk_fp8_f32 v64, v66, v67 op_sel:[0,0,1]              // 0000000064C4: D2A24040 00028742
	v_pk_mul_f32 v[80:81], v[4:5], v[80:81]                    // 0000000064CC: D3B14050 1802A104
	v_pk_mul_f32 v[82:83], v[4:5], v[82:83]                    // 0000000064D4: D3B14052 1802A504
	v_cvt_pk_fp8_f32 v80, v80, v81                             // 0000000064DC: D2A20050 0002A350
	v_cvt_pk_fp8_f32 v80, v82, v83 op_sel:[0,0,1]              // 0000000064E4: D2A24050 0002A752
	v_rcp_f32_e32 v90, v90                                     // 0000000064EC: 7EB4455A
	v_mov_b32_e32 v91, 0x358637bd                              // 0000000064F0: 7EB602FF 358637BD
	v_max3_f32 v91, |v68|, |v69|, v91                          // 0000000064F8: D1D3035B 056E8B44
	v_max3_f32 v91, |v70|, |v71|, v91                          // 000000006500: D1D3035B 056E8F46
	v_max3_f32 v91, |v84|, |v85|, v91                          // 000000006508: D1D3035B 056EAB54
	v_max3_f32 v91, |v86|, |v87|, v91                          // 000000006510: D1D3035B 056EAF56
	ds_write_b32 v92, v91                                      // 000000006518: D81A0000 00005B5C
	s_waitcnt lgkmcnt(0)                                       // 000000006520: BF8CC07F
	s_barrier                                                  // 000000006524: BF8A0000
	ds_read_b32 v4, v93                                        // 000000006528: D86C0000 0400005D
	ds_read_b32 v5, v93 offset:64                              // 000000006530: D86C0040 0500005D
	ds_read_b32 v6, v93 offset:128                             // 000000006538: D86C0080 0600005D
	ds_read_b32 v7, v93 offset:192                             // 000000006540: D86C00C0 0700005D
	ds_read_b32 v8, v93 offset:256                             // 000000006548: D86C0100 0800005D
	ds_read_b32 v9, v93 offset:320                             // 000000006550: D86C0140 0900005D
	ds_read_b32 v10, v93 offset:384                            // 000000006558: D86C0180 0A00005D
	ds_read_b32 v11, v93 offset:448                            // 000000006560: D86C01C0 0B00005D
	ds_read_b32 v12, v93 offset:512                            // 000000006568: D86C0200 0C00005D
	ds_read_b32 v13, v93 offset:576                            // 000000006570: D86C0240 0D00005D
	ds_read_b32 v14, v93 offset:640                            // 000000006578: D86C0280 0E00005D
	ds_read_b32 v15, v93 offset:704                            // 000000006580: D86C02C0 0F00005D
	ds_read_b32 v16, v93 offset:768                            // 000000006588: D86C0300 1000005D
	ds_read_b32 v17, v93 offset:832                            // 000000006590: D86C0340 1100005D
	ds_read_b32 v18, v93 offset:896                            // 000000006598: D86C0380 1200005D
	ds_read_b32 v19, v93 offset:960                            // 0000000065A0: D86C03C0 1300005D
	s_waitcnt lgkmcnt(0)                                       // 0000000065A8: BF8CC07F
	s_barrier                                                  // 0000000065AC: BF8A0000
	v_max3_f32 v91, |v4|, |v5|, v91                            // 0000000065B0: D1D3035B 056E0B04
	v_max3_f32 v91, |v6|, |v7|, v91                            // 0000000065B8: D1D3035B 056E0F06
	v_max3_f32 v91, |v8|, |v9|, v91                            // 0000000065C0: D1D3035B 056E1308
	v_max3_f32 v91, |v10|, |v11|, v91                          // 0000000065C8: D1D3035B 056E170A
	v_max3_f32 v91, |v12|, |v13|, v91                          // 0000000065D0: D1D3035B 056E1B0C
	v_max3_f32 v91, |v14|, |v15|, v91                          // 0000000065D8: D1D3035B 056E1F0E
	v_max3_f32 v91, |v16|, |v17|, v91                          // 0000000065E0: D1D3035B 056E2310
	v_max3_f32 v91, |v18|, |v19|, v91                          // 0000000065E8: D1D3035B 056E2712
	v_rcp_f32_e32 v91, v91                                     // 0000000065F0: 7EB6455B
	v_mov_b32_e32 v4, 0x43700000                               // 0000000065F4: 7E0802FF 43700000
	v_mul_f32_e32 v91, v4, v91                                 // 0000000065FC: 0AB6B704
	v_mov_b32_e32 v4, v91                                      // 000000006600: 7E08035B
	v_mov_b32_e32 v5, v4                                       // 000000006604: 7E0A0304
	v_pk_mul_f32 v[68:69], v[4:5], v[68:69]                    // 000000006608: D3B14044 18028904
	v_pk_mul_f32 v[70:71], v[4:5], v[70:71]                    // 000000006610: D3B14046 18028D04
	v_cvt_pk_fp8_f32 v68, v68, v69                             // 000000006618: D2A20044 00028B44
	v_cvt_pk_fp8_f32 v68, v70, v71 op_sel:[0,0,1]              // 000000006620: D2A24044 00028F46
	v_pk_mul_f32 v[84:85], v[4:5], v[84:85]                    // 000000006628: D3B14054 1802A904
	v_pk_mul_f32 v[86:87], v[4:5], v[86:87]                    // 000000006630: D3B14056 1802AD04
	v_cvt_pk_fp8_f32 v84, v84, v85                             // 000000006638: D2A20054 0002AB54
	v_cvt_pk_fp8_f32 v84, v86, v87 op_sel:[0,0,1]              // 000000006640: D2A24054 0002AF56
	v_rcp_f32_e32 v91, v91                                     // 000000006648: 7EB6455B
	v_lshrrev_b32_e32 v4, 5, v0                                // 00000000664C: 20080085
	v_mul_lo_u32 v20, 34, v4                                   // 000000006650: D2850014 000208A2
	v_and_b32_e32 v4, 31, v0                                   // 000000006658: 2608009F
	v_lshrrev_b32_e32 v5, 4, v4                                // 00000000665C: 200A0884
	v_add_u32_e32 v20, v5, v20                                 // 000000006660: 68282905
	v_and_b32_e32 v4, 15, v0                                   // 000000006664: 2608008F
	v_mul_lo_u32 v5, 2, v4                                     // 000000006668: D2850005 00020882
	v_add_u32_e32 v20, v5, v20                                 // 000000006670: 68282905
	s_mul_i32 s60, s7, 0x44                                    // 000000006674: 923CFF07 00000044
	v_add_u32_e32 v20, s60, v20                                // 00000000667C: 6828283C
	v_lshlrev_b32_e32 v20, 2, v20                              // 000000006680: 24282882
	ds_write_b32 v20, v56                                      // 000000006684: D81A0000 00003814
	ds_write_b32 v20, v60 offset:2176                          // 00000000668C: D81A0880 00003C14
	ds_write_b32 v20, v64 offset:4352                          // 000000006694: D81A1100 00004014
	ds_write_b32 v20, v68 offset:6528                          // 00000000669C: D81A1980 00004414
	ds_write_b32 v20, v72 offset:1088                          // 0000000066A4: D81A0440 00004814
	ds_write_b32 v20, v76 offset:3264                          // 0000000066AC: D81A0CC0 00004C14
	ds_write_b32 v20, v80 offset:5440                          // 0000000066B4: D81A1540 00005014
	ds_write_b32 v20, v84 offset:7616                          // 0000000066BC: D81A1DC0 00005414
	v_lshrrev_b32_e32 v4, 5, v0                                // 0000000066C4: 20080085
	v_xor_b32_e32 v5, 1, v4                                    // 0000000066C8: 2A0A0881
	s_mul_i32 s60, s65, 1                                      // 0000000066CC: 923C8141
	s_cmp_eq_u32 s88, 0                                        // 0000000066D0: BF068058
	s_cselect_b32 s61, 1, 8                                    // 0000000066D4: 853D8881
	s_mul_i32 s60, s61, s60                                    // 0000000066D8: 923C3C3D
	v_readlane_b32 s82, v3, 0                                  // 0000000066DC: D2890052 00010103
	s_lshr_b32 s61, s82, 24                                    // 0000000066E4: 8F3D9852
	s_and_b32 s82, s82, 0xffffff                               // 0000000066E8: 8652FF52 00FFFFFF
	s_mul_i32 s82, s82, s71                                    // 0000000066F0: 92524752
	s_mul_i32 s61, s60, s61                                    // 0000000066F4: 923D3D3C
	s_add_u32 s82, s82, s61                                    // 0000000066F8: 80523D52
	v_mul_lo_u32 v6, v5, s82                                   // 0000000066FC: D2850006 0000A505
	v_readlane_b32 s82, v3, 1                                  // 000000006704: D2890052 00010303
	s_lshr_b32 s61, s82, 24                                    // 00000000670C: 8F3D9852
	s_and_b32 s82, s82, 0xffffff                               // 000000006710: 8652FF52 00FFFFFF
	s_mul_i32 s82, s82, s71                                    // 000000006718: 92524752
	s_mul_i32 s61, s60, s61                                    // 00000000671C: 923D3D3C
	s_add_u32 s82, s82, s61                                    // 000000006720: 80523D52
	v_mul_lo_u32 v7, v4, s82                                   // 000000006724: D2850007 0000A504
	v_add_u32_e32 v46, v6, v7                                  // 00000000672C: 685C0F06
	v_readlane_b32 s82, v3, 2                                  // 000000006730: D2890052 00010503
	s_lshr_b32 s61, s82, 24                                    // 000000006738: 8F3D9852
	s_and_b32 s82, s82, 0xffffff                               // 00000000673C: 8652FF52 00FFFFFF
	s_mul_i32 s82, s82, s71                                    // 000000006744: 92524752
	s_mul_i32 s61, s60, s61                                    // 000000006748: 923D3D3C
	s_add_u32 s82, s82, s61                                    // 00000000674C: 80523D52
	v_mul_lo_u32 v6, v5, s82                                   // 000000006750: D2850006 0000A505
	v_readlane_b32 s82, v3, 3                                  // 000000006758: D2890052 00010703
	s_lshr_b32 s61, s82, 24                                    // 000000006760: 8F3D9852
	s_and_b32 s82, s82, 0xffffff                               // 000000006764: 8652FF52 00FFFFFF
	s_mul_i32 s82, s82, s71                                    // 00000000676C: 92524752
	s_mul_i32 s61, s60, s61                                    // 000000006770: 923D3D3C
	s_add_u32 s82, s82, s61                                    // 000000006774: 80523D52
	v_mul_lo_u32 v7, v4, s82                                   // 000000006778: D2850007 0000A504
	v_add_u32_e32 v47, v6, v7                                  // 000000006780: 685E0F06
	v_readlane_b32 s82, v3, 4                                  // 000000006784: D2890052 00010903
	s_lshr_b32 s61, s82, 24                                    // 00000000678C: 8F3D9852
	s_and_b32 s82, s82, 0xffffff                               // 000000006790: 8652FF52 00FFFFFF
	s_mul_i32 s82, s82, s71                                    // 000000006798: 92524752
	s_mul_i32 s61, s60, s61                                    // 00000000679C: 923D3D3C
	s_add_u32 s82, s82, s61                                    // 0000000067A0: 80523D52
	v_mul_lo_u32 v6, v5, s82                                   // 0000000067A4: D2850006 0000A505
	v_readlane_b32 s82, v3, 5                                  // 0000000067AC: D2890052 00010B03
	s_lshr_b32 s61, s82, 24                                    // 0000000067B4: 8F3D9852
	s_and_b32 s82, s82, 0xffffff                               // 0000000067B8: 8652FF52 00FFFFFF
	s_mul_i32 s82, s82, s71                                    // 0000000067C0: 92524752
	s_mul_i32 s61, s60, s61                                    // 0000000067C4: 923D3D3C
	s_add_u32 s82, s82, s61                                    // 0000000067C8: 80523D52
	v_mul_lo_u32 v7, v4, s82                                   // 0000000067CC: D2850007 0000A504
	v_add_u32_e32 v48, v6, v7                                  // 0000000067D4: 68600F06
	v_readlane_b32 s82, v3, 6                                  // 0000000067D8: D2890052 00010D03
	s_lshr_b32 s61, s82, 24                                    // 0000000067E0: 8F3D9852
	s_and_b32 s82, s82, 0xffffff                               // 0000000067E4: 8652FF52 00FFFFFF
	s_mul_i32 s82, s82, s71                                    // 0000000067EC: 92524752
	s_mul_i32 s61, s60, s61                                    // 0000000067F0: 923D3D3C
	s_add_u32 s82, s82, s61                                    // 0000000067F4: 80523D52
	v_mul_lo_u32 v6, v5, s82                                   // 0000000067F8: D2850006 0000A505
	v_readlane_b32 s82, v3, 7                                  // 000000006800: D2890052 00010F03
	s_lshr_b32 s61, s82, 24                                    // 000000006808: 8F3D9852
	s_and_b32 s82, s82, 0xffffff                               // 00000000680C: 8652FF52 00FFFFFF
	s_mul_i32 s82, s82, s71                                    // 000000006814: 92524752
	s_mul_i32 s61, s60, s61                                    // 000000006818: 923D3D3C
	s_add_u32 s82, s82, s61                                    // 00000000681C: 80523D52
	v_mul_lo_u32 v7, v4, s82                                   // 000000006820: D2850007 0000A504
	v_add_u32_e32 v49, v6, v7                                  // 000000006828: 68620F06
	v_readlane_b32 s82, v3, 8                                  // 00000000682C: D2890052 00011103
	s_lshr_b32 s61, s82, 24                                    // 000000006834: 8F3D9852
	s_and_b32 s82, s82, 0xffffff                               // 000000006838: 8652FF52 00FFFFFF
	s_mul_i32 s82, s82, s71                                    // 000000006840: 92524752
	s_mul_i32 s61, s60, s61                                    // 000000006844: 923D3D3C
	s_add_u32 s82, s82, s61                                    // 000000006848: 80523D52
	v_mul_lo_u32 v6, v5, s82                                   // 00000000684C: D2850006 0000A505
	v_readlane_b32 s82, v3, 9                                  // 000000006854: D2890052 00011303
	s_lshr_b32 s61, s82, 24                                    // 00000000685C: 8F3D9852
	s_and_b32 s82, s82, 0xffffff                               // 000000006860: 8652FF52 00FFFFFF
	s_mul_i32 s82, s82, s71                                    // 000000006868: 92524752
	s_mul_i32 s61, s60, s61                                    // 00000000686C: 923D3D3C
	s_add_u32 s82, s82, s61                                    // 000000006870: 80523D52
	v_mul_lo_u32 v7, v4, s82                                   // 000000006874: D2850007 0000A504
	v_add_u32_e32 v50, v6, v7                                  // 00000000687C: 68640F06
	v_readlane_b32 s82, v3, 10                                 // 000000006880: D2890052 00011503
	s_lshr_b32 s61, s82, 24                                    // 000000006888: 8F3D9852
	s_and_b32 s82, s82, 0xffffff                               // 00000000688C: 8652FF52 00FFFFFF
	s_mul_i32 s82, s82, s71                                    // 000000006894: 92524752
	s_mul_i32 s61, s60, s61                                    // 000000006898: 923D3D3C
	s_add_u32 s82, s82, s61                                    // 00000000689C: 80523D52
	v_mul_lo_u32 v6, v5, s82                                   // 0000000068A0: D2850006 0000A505
	v_readlane_b32 s82, v3, 11                                 // 0000000068A8: D2890052 00011703
	s_lshr_b32 s61, s82, 24                                    // 0000000068B0: 8F3D9852
	s_and_b32 s82, s82, 0xffffff                               // 0000000068B4: 8652FF52 00FFFFFF
	s_mul_i32 s82, s82, s71                                    // 0000000068BC: 92524752
	s_mul_i32 s61, s60, s61                                    // 0000000068C0: 923D3D3C
	s_add_u32 s82, s82, s61                                    // 0000000068C4: 80523D52
	v_mul_lo_u32 v7, v4, s82                                   // 0000000068C8: D2850007 0000A504
	v_add_u32_e32 v51, v6, v7                                  // 0000000068D0: 68660F06
	v_readlane_b32 s82, v3, 12                                 // 0000000068D4: D2890052 00011903
	s_lshr_b32 s61, s82, 24                                    // 0000000068DC: 8F3D9852
	s_and_b32 s82, s82, 0xffffff                               // 0000000068E0: 8652FF52 00FFFFFF
	s_mul_i32 s82, s82, s71                                    // 0000000068E8: 92524752
	s_mul_i32 s61, s60, s61                                    // 0000000068EC: 923D3D3C
	s_add_u32 s82, s82, s61                                    // 0000000068F0: 80523D52
	v_mul_lo_u32 v6, v5, s82                                   // 0000000068F4: D2850006 0000A505
	v_readlane_b32 s82, v3, 13                                 // 0000000068FC: D2890052 00011B03
	s_lshr_b32 s61, s82, 24                                    // 000000006904: 8F3D9852
	s_and_b32 s82, s82, 0xffffff                               // 000000006908: 8652FF52 00FFFFFF
	s_mul_i32 s82, s82, s71                                    // 000000006910: 92524752
	s_mul_i32 s61, s60, s61                                    // 000000006914: 923D3D3C
	s_add_u32 s82, s82, s61                                    // 000000006918: 80523D52
	v_mul_lo_u32 v7, v4, s82                                   // 00000000691C: D2850007 0000A504
	v_add_u32_e32 v52, v6, v7                                  // 000000006924: 68680F06
	v_readlane_b32 s82, v3, 14                                 // 000000006928: D2890052 00011D03
	s_lshr_b32 s61, s82, 24                                    // 000000006930: 8F3D9852
	s_and_b32 s82, s82, 0xffffff                               // 000000006934: 8652FF52 00FFFFFF
	s_mul_i32 s82, s82, s71                                    // 00000000693C: 92524752
	s_mul_i32 s61, s60, s61                                    // 000000006940: 923D3D3C
	s_add_u32 s82, s82, s61                                    // 000000006944: 80523D52
	v_mul_lo_u32 v6, v5, s82                                   // 000000006948: D2850006 0000A505
	v_readlane_b32 s82, v3, 15                                 // 000000006950: D2890052 00011F03
	s_lshr_b32 s61, s82, 24                                    // 000000006958: 8F3D9852
	s_and_b32 s82, s82, 0xffffff                               // 00000000695C: 8652FF52 00FFFFFF
	s_mul_i32 s82, s82, s71                                    // 000000006964: 92524752
	s_mul_i32 s61, s60, s61                                    // 000000006968: 923D3D3C
	s_add_u32 s82, s82, s61                                    // 00000000696C: 80523D52
	v_mul_lo_u32 v7, v4, s82                                   // 000000006970: D2850007 0000A504
	v_add_u32_e32 v53, v6, v7                                  // 000000006978: 686A0F06
	v_and_b32_e32 v4, 31, v0                                   // 00000000697C: 2608009F
	v_lshrrev_b32_e32 v4, 1, v4                                // 000000006980: 20080881
	s_cmp_eq_u32 s88, 0                                        // 000000006984: BF068058
	s_cselect_b32 s61, 2, 4                                    // 000000006988: 853D8482
	v_mul_lo_u32 v4, v4, s61                                   // 00000000698C: D2850004 00007B04
	v_and_b32_e64 v5, v0, 1                                    // 000000006994: D1130005 00010300
	v_add_u32_e32 v4, v4, v5                                   // 00000000699C: 68080B04
	v_lshlrev_b32_e32 v4, 2, v4                                // 0000000069A0: 24080882
	v_add_u32_e32 v46, v46, v4                                 // 0000000069A4: 685C092E
	v_add_u32_e32 v47, v47, v4                                 // 0000000069A8: 685E092F
	v_add_u32_e32 v48, v48, v4                                 // 0000000069AC: 68600930
	v_add_u32_e32 v49, v49, v4                                 // 0000000069B0: 68620931
	v_add_u32_e32 v50, v50, v4                                 // 0000000069B4: 68640932
	v_add_u32_e32 v51, v51, v4                                 // 0000000069B8: 68660933
	v_add_u32_e32 v52, v52, v4                                 // 0000000069BC: 68680934
	v_add_u32_e32 v53, v53, v4                                 // 0000000069C0: 686A0935
	s_waitcnt lgkmcnt(0)                                       // 0000000069C4: BF8CC07F
	s_barrier                                                  // 0000000069C8: BF8A0000
	ds_read_b32 v56, v21                                       // 0000000069CC: D86C0000 38000015
	ds_read_b32 v57, v21 offset:64                             // 0000000069D4: D86C0040 39000015
	ds_read_b32 v58, v21 offset:2176                           // 0000000069DC: D86C0880 3A000015
	ds_read_b32 v59, v21 offset:2240                           // 0000000069E4: D86C08C0 3B000015
	ds_read_b32 v60, v21 offset:4352                           // 0000000069EC: D86C1100 3C000015
	ds_read_b32 v61, v21 offset:4416                           // 0000000069F4: D86C1140 3D000015
	ds_read_b32 v62, v21 offset:6528                           // 0000000069FC: D86C1980 3E000015
	ds_read_b32 v63, v21 offset:6592                           // 000000006A04: D86C19C0 3F000015
	s_waitcnt lgkmcnt(0)                                       // 000000006A0C: BF8CC07F
	s_mov_b32 s36, -1                                          // 000000006A10: BEA400C1
	s_mov_b32 s37, -1                                          // 000000006A14: BEA500C1
	v_mov_b32_e32 v7, 0                                        // 000000006A18: 7E0E0280
	s_or_b32 s9, s9, 0x40000                                   // 000000006A1C: 8709FF09 00040000
	s_mov_b64 exec, s[36:37]                                   // 000000006A24: BEFE0124
	v_mov_b32_e32 v6, v46                                      // 000000006A28: 7E0C032E
	s_mov_b64 s[60:61], 0                                      // 000000006A2C: BEBC0180
	v_readlane_b32 s82, v3, 0                                  // 000000006A30: D2890052 00010103
	s_and_b32 s82, s82, 0xffffff                               // 000000006A38: 8652FF52 00FFFFFF
	s_cmp_lt_u32 s82, s66                                      // 000000006A40: BF0A4252
	s_cselect_b32 s20, s36, s60                                // 000000006A44: 85143C24
	v_readlane_b32 s82, v3, 1                                  // 000000006A48: D2890052 00010303
	s_and_b32 s82, s82, 0xffffff                               // 000000006A50: 8652FF52 00FFFFFF
	s_cmp_lt_u32 s82, s66                                      // 000000006A58: BF0A4252
	s_cselect_b32 s21, s36, s60                                // 000000006A5C: 85153C24
	s_mov_b64 exec, s[20:21]                                   // 000000006A60: BEFE0114
	buffer_store_dword v56, v6, s[8:11], 0 offen               // 000000006A64: E0701000 80023806
	s_mov_b64 exec, s[36:37]                                   // 000000006A6C: BEFE0124
	v_mov_b32_e32 v6, v47                                      // 000000006A70: 7E0C032F
	s_mov_b64 s[60:61], 0                                      // 000000006A74: BEBC0180
	v_readlane_b32 s82, v3, 2                                  // 000000006A78: D2890052 00010503
	s_and_b32 s82, s82, 0xffffff                               // 000000006A80: 8652FF52 00FFFFFF
	s_cmp_lt_u32 s82, s66                                      // 000000006A88: BF0A4252
	s_cselect_b32 s20, s36, s60                                // 000000006A8C: 85143C24
	v_readlane_b32 s82, v3, 3                                  // 000000006A90: D2890052 00010703
	s_and_b32 s82, s82, 0xffffff                               // 000000006A98: 8652FF52 00FFFFFF
	s_cmp_lt_u32 s82, s66                                      // 000000006AA0: BF0A4252
	s_cselect_b32 s21, s36, s60                                // 000000006AA4: 85153C24
	s_mov_b64 exec, s[20:21]                                   // 000000006AA8: BEFE0114
	buffer_store_dword v57, v6, s[8:11], 0 offen               // 000000006AAC: E0701000 80023906
	s_mov_b64 exec, s[36:37]                                   // 000000006AB4: BEFE0124
	v_mov_b32_e32 v6, v48                                      // 000000006AB8: 7E0C0330
	s_mov_b64 s[60:61], 0                                      // 000000006ABC: BEBC0180
	v_readlane_b32 s82, v3, 4                                  // 000000006AC0: D2890052 00010903
	s_and_b32 s82, s82, 0xffffff                               // 000000006AC8: 8652FF52 00FFFFFF
	s_cmp_lt_u32 s82, s66                                      // 000000006AD0: BF0A4252
	s_cselect_b32 s20, s36, s60                                // 000000006AD4: 85143C24
	v_readlane_b32 s82, v3, 5                                  // 000000006AD8: D2890052 00010B03
	s_and_b32 s82, s82, 0xffffff                               // 000000006AE0: 8652FF52 00FFFFFF
	s_cmp_lt_u32 s82, s66                                      // 000000006AE8: BF0A4252
	s_cselect_b32 s21, s36, s60                                // 000000006AEC: 85153C24
	s_mov_b64 exec, s[20:21]                                   // 000000006AF0: BEFE0114
	buffer_store_dword v58, v6, s[8:11], 0 offen               // 000000006AF4: E0701000 80023A06
	s_mov_b64 exec, s[36:37]                                   // 000000006AFC: BEFE0124
	v_mov_b32_e32 v6, v49                                      // 000000006B00: 7E0C0331
	s_mov_b64 s[60:61], 0                                      // 000000006B04: BEBC0180
	v_readlane_b32 s82, v3, 6                                  // 000000006B08: D2890052 00010D03
	s_and_b32 s82, s82, 0xffffff                               // 000000006B10: 8652FF52 00FFFFFF
	s_cmp_lt_u32 s82, s66                                      // 000000006B18: BF0A4252
	s_cselect_b32 s20, s36, s60                                // 000000006B1C: 85143C24
	v_readlane_b32 s82, v3, 7                                  // 000000006B20: D2890052 00010F03
	s_and_b32 s82, s82, 0xffffff                               // 000000006B28: 8652FF52 00FFFFFF
	s_cmp_lt_u32 s82, s66                                      // 000000006B30: BF0A4252
	s_cselect_b32 s21, s36, s60                                // 000000006B34: 85153C24
	s_mov_b64 exec, s[20:21]                                   // 000000006B38: BEFE0114
	buffer_store_dword v59, v6, s[8:11], 0 offen               // 000000006B3C: E0701000 80023B06
	s_mov_b64 exec, s[36:37]                                   // 000000006B44: BEFE0124
	v_mov_b32_e32 v6, v50                                      // 000000006B48: 7E0C0332
	s_mov_b64 s[60:61], 0                                      // 000000006B4C: BEBC0180
	v_readlane_b32 s82, v3, 8                                  // 000000006B50: D2890052 00011103
	s_and_b32 s82, s82, 0xffffff                               // 000000006B58: 8652FF52 00FFFFFF
	s_cmp_lt_u32 s82, s66                                      // 000000006B60: BF0A4252
	s_cselect_b32 s20, s36, s60                                // 000000006B64: 85143C24
	v_readlane_b32 s82, v3, 9                                  // 000000006B68: D2890052 00011303
	s_and_b32 s82, s82, 0xffffff                               // 000000006B70: 8652FF52 00FFFFFF
	s_cmp_lt_u32 s82, s66                                      // 000000006B78: BF0A4252
	s_cselect_b32 s21, s36, s60                                // 000000006B7C: 85153C24
	s_mov_b64 exec, s[20:21]                                   // 000000006B80: BEFE0114
	buffer_store_dword v60, v6, s[8:11], 0 offen               // 000000006B84: E0701000 80023C06
	s_mov_b64 exec, s[36:37]                                   // 000000006B8C: BEFE0124
	v_mov_b32_e32 v6, v51                                      // 000000006B90: 7E0C0333
	s_mov_b64 s[60:61], 0                                      // 000000006B94: BEBC0180
	v_readlane_b32 s82, v3, 10                                 // 000000006B98: D2890052 00011503
	s_and_b32 s82, s82, 0xffffff                               // 000000006BA0: 8652FF52 00FFFFFF
	s_cmp_lt_u32 s82, s66                                      // 000000006BA8: BF0A4252
	s_cselect_b32 s20, s36, s60                                // 000000006BAC: 85143C24
	v_readlane_b32 s82, v3, 11                                 // 000000006BB0: D2890052 00011703
	s_and_b32 s82, s82, 0xffffff                               // 000000006BB8: 8652FF52 00FFFFFF
	s_cmp_lt_u32 s82, s66                                      // 000000006BC0: BF0A4252
	s_cselect_b32 s21, s36, s60                                // 000000006BC4: 85153C24
	s_mov_b64 exec, s[20:21]                                   // 000000006BC8: BEFE0114
	buffer_store_dword v61, v6, s[8:11], 0 offen               // 000000006BCC: E0701000 80023D06
	s_mov_b64 exec, s[36:37]                                   // 000000006BD4: BEFE0124
	v_mov_b32_e32 v6, v52                                      // 000000006BD8: 7E0C0334
	s_mov_b64 s[60:61], 0                                      // 000000006BDC: BEBC0180
	v_readlane_b32 s82, v3, 12                                 // 000000006BE0: D2890052 00011903
	s_and_b32 s82, s82, 0xffffff                               // 000000006BE8: 8652FF52 00FFFFFF
	s_cmp_lt_u32 s82, s66                                      // 000000006BF0: BF0A4252
	s_cselect_b32 s20, s36, s60                                // 000000006BF4: 85143C24
	v_readlane_b32 s82, v3, 13                                 // 000000006BF8: D2890052 00011B03
	s_and_b32 s82, s82, 0xffffff                               // 000000006C00: 8652FF52 00FFFFFF
	s_cmp_lt_u32 s82, s66                                      // 000000006C08: BF0A4252
	s_cselect_b32 s21, s36, s60                                // 000000006C0C: 85153C24
	s_mov_b64 exec, s[20:21]                                   // 000000006C10: BEFE0114
	buffer_store_dword v62, v6, s[8:11], 0 offen               // 000000006C14: E0701000 80023E06
	s_mov_b64 exec, s[36:37]                                   // 000000006C1C: BEFE0124
	v_mov_b32_e32 v6, v53                                      // 000000006C20: 7E0C0335
	s_mov_b64 s[60:61], 0                                      // 000000006C24: BEBC0180
	v_readlane_b32 s82, v3, 14                                 // 000000006C28: D2890052 00011D03
	s_and_b32 s82, s82, 0xffffff                               // 000000006C30: 8652FF52 00FFFFFF
	s_cmp_lt_u32 s82, s66                                      // 000000006C38: BF0A4252
	s_cselect_b32 s20, s36, s60                                // 000000006C3C: 85143C24
	v_readlane_b32 s82, v3, 15                                 // 000000006C40: D2890052 00011F03
	s_and_b32 s82, s82, 0xffffff                               // 000000006C48: 8652FF52 00FFFFFF
	s_cmp_lt_u32 s82, s66                                      // 000000006C50: BF0A4252
	s_cselect_b32 s21, s36, s60                                // 000000006C54: 85153C24
	s_mov_b64 exec, s[20:21]                                   // 000000006C58: BEFE0114
	buffer_store_dword v63, v6, s[8:11], 0 offen               // 000000006C5C: E0701000 80023F06
	s_mov_b64 exec, s[36:37]                                   // 000000006C64: BEFE0124
	s_cmp_eq_u32 s7, 0                                         // 000000006C68: BF068007
	s_cbranch_scc0 label_2766                                  // 000000006C6C: BF8416C7
	s_waitcnt vmcnt(8)                                         // 000000006C70: BF8C0F78
	s_mov_b32 s8, s90                                          // 000000006C74: BE88005A
	s_mov_b32 s9, s91                                          // 000000006C78: BE89005B
	s_mul_i32 s60, s66, s71                                    // 000000006C7C: 923C4742
	s_add_u32 s8, s60, s8                                      // 000000006C80: 8008083C
	s_addc_u32 s9, 0, s9                                       // 000000006C84: 82090980
	s_lshr_b32 s71, s71, 5                                     // 000000006C88: 8F478547
	s_mul_i32 s60, s66, s71                                    // 000000006C8C: 923C4742
	s_mov_b32 s10, s60                                         // 000000006C90: BE8A003C
	s_lshr_b32 s61, s65, 5                                     // 000000006C94: 8F3D8541
	s_mul_i32 s60, s2, 4                                       // 000000006C98: 923C8402
	v_lshrrev_b32_e32 v4, 24, v30                              // 000000006C9C: 20083C98
	v_mul_lo_u32 v4, s61, v4                                   // 000000006CA0: D2850004 0002083D
	v_and_b32_e32 v30, 0xffffff, v30                           // 000000006CA8: 263C3CFF 00FFFFFF
	v_mul_lo_u32 v30, s71, v30                                 // 000000006CB0: D285001E 00023C47
	v_add_u32_e32 v30, v4, v30                                 // 000000006CB8: 683C3D04
	v_add_u32_e32 v30, s60, v30                                // 000000006CBC: 683C3C3C
	v_lshrrev_b32_e32 v4, 24, v31                              // 000000006CC0: 20083E98
	v_mul_lo_u32 v4, s61, v4                                   // 000000006CC4: D2850004 0002083D
	v_and_b32_e32 v31, 0xffffff, v31                           // 000000006CCC: 263E3EFF 00FFFFFF
	v_mul_lo_u32 v31, s71, v31                                 // 000000006CD4: D285001F 00023E47
	v_add_u32_e32 v31, v4, v31                                 // 000000006CDC: 683E3F04
	v_add_u32_e32 v31, s60, v31                                // 000000006CE0: 683E3E3C
	v_lshrrev_b32_e32 v4, 24, v32                              // 000000006CE4: 20084098
	v_mul_lo_u32 v4, s61, v4                                   // 000000006CE8: D2850004 0002083D
	v_and_b32_e32 v32, 0xffffff, v32                           // 000000006CF0: 264040FF 00FFFFFF
	v_mul_lo_u32 v32, s71, v32                                 // 000000006CF8: D2850020 00024047
	v_add_u32_e32 v32, v4, v32                                 // 000000006D00: 68404104
	v_add_u32_e32 v32, s60, v32                                // 000000006D04: 6840403C
	v_lshrrev_b32_e32 v4, 24, v33                              // 000000006D08: 20084298
	v_mul_lo_u32 v4, s61, v4                                   // 000000006D0C: D2850004 0002083D
	v_and_b32_e32 v33, 0xffffff, v33                           // 000000006D14: 264242FF 00FFFFFF
	v_mul_lo_u32 v33, s71, v33                                 // 000000006D1C: D2850021 00024247
	v_add_u32_e32 v33, v4, v33                                 // 000000006D24: 68424304
	v_add_u32_e32 v33, s60, v33                                // 000000006D28: 6842423C
	s_mov_b64 exec, 0xffff                                     // 000000006D2C: BEFE01FF 0000FFFF
	buffer_store_dword v88, v30, s[8:11], 0 offen              // 000000006D34: E0701000 8002581E
	buffer_store_dword v89, v31, s[8:11], 0 offen              // 000000006D3C: E0701000 8002591F
	buffer_store_dword v90, v32, s[8:11], 0 offen              // 000000006D44: E0701000 80025A20
	buffer_store_dword v91, v33, s[8:11], 0 offen              // 000000006D4C: E0701000 80025B21
	s_mov_b64 exec, s[36:37]                                   // 000000006D54: BEFE0124
	s_branch label_2766                                        // 000000006D58: BF82168C

0000000000006d5c <label_10D7>:
	ds_write_b64 v20, v[56:57]                                 // 000000006D5C: D89A0000 00003814
	ds_write_b64 v20, v[60:61] offset:4352                     // 000000006D64: D89A1100 00003C14
	ds_write_b64 v20, v[64:65] offset:8704                     // 000000006D6C: D89A2200 00004014
	ds_write_b64 v20, v[68:69] offset:13056                    // 000000006D74: D89A3300 00004414
	ds_write_b64 v20, v[72:73] offset:2176                     // 000000006D7C: D89A0880 00004814
	ds_write_b64 v20, v[76:77] offset:6528                     // 000000006D84: D89A1980 00004C14
	ds_write_b64 v20, v[80:81] offset:10880                    // 000000006D8C: D89A2A80 00005014
	ds_write_b64 v20, v[84:85] offset:15232                    // 000000006D94: D89A3B80 00005414
	v_lshrrev_b32_e32 v4, 5, v0                                // 000000006D9C: 20080085
	v_xor_b32_e32 v5, 1, v4                                    // 000000006DA0: 2A0A0881
	s_mul_i32 s60, s65, 1                                      // 000000006DA4: 923C8141
	s_cmp_eq_u32 s88, 0                                        // 000000006DA8: BF068058
	s_cselect_b32 s61, 1, 8                                    // 000000006DAC: 853D8881
	s_mul_i32 s60, s61, s60                                    // 000000006DB0: 923C3C3D
	v_readlane_b32 s82, v3, 0                                  // 000000006DB4: D2890052 00010103
	s_lshr_b32 s61, s82, 24                                    // 000000006DBC: 8F3D9852
	s_and_b32 s82, s82, 0xffffff                               // 000000006DC0: 8652FF52 00FFFFFF
	s_mul_i32 s82, s82, s71                                    // 000000006DC8: 92524752
	s_mul_i32 s61, s60, s61                                    // 000000006DCC: 923D3D3C
	s_add_u32 s82, s82, s61                                    // 000000006DD0: 80523D52
	v_mul_lo_u32 v6, v5, s82                                   // 000000006DD4: D2850006 0000A505
	v_readlane_b32 s82, v3, 1                                  // 000000006DDC: D2890052 00010303
	s_lshr_b32 s61, s82, 24                                    // 000000006DE4: 8F3D9852
	s_and_b32 s82, s82, 0xffffff                               // 000000006DE8: 8652FF52 00FFFFFF
	s_mul_i32 s82, s82, s71                                    // 000000006DF0: 92524752
	s_mul_i32 s61, s60, s61                                    // 000000006DF4: 923D3D3C
	s_add_u32 s82, s82, s61                                    // 000000006DF8: 80523D52
	v_mul_lo_u32 v7, v4, s82                                   // 000000006DFC: D2850007 0000A504
	v_add_u32_e32 v46, v6, v7                                  // 000000006E04: 685C0F06
	v_readlane_b32 s82, v3, 2                                  // 000000006E08: D2890052 00010503
	s_lshr_b32 s61, s82, 24                                    // 000000006E10: 8F3D9852
	s_and_b32 s82, s82, 0xffffff                               // 000000006E14: 8652FF52 00FFFFFF
	s_mul_i32 s82, s82, s71                                    // 000000006E1C: 92524752
	s_mul_i32 s61, s60, s61                                    // 000000006E20: 923D3D3C
	s_add_u32 s82, s82, s61                                    // 000000006E24: 80523D52
	v_mul_lo_u32 v6, v5, s82                                   // 000000006E28: D2850006 0000A505
	v_readlane_b32 s82, v3, 3                                  // 000000006E30: D2890052 00010703
	s_lshr_b32 s61, s82, 24                                    // 000000006E38: 8F3D9852
	s_and_b32 s82, s82, 0xffffff                               // 000000006E3C: 8652FF52 00FFFFFF
	s_mul_i32 s82, s82, s71                                    // 000000006E44: 92524752
	s_mul_i32 s61, s60, s61                                    // 000000006E48: 923D3D3C
	s_add_u32 s82, s82, s61                                    // 000000006E4C: 80523D52
	v_mul_lo_u32 v7, v4, s82                                   // 000000006E50: D2850007 0000A504
	v_add_u32_e32 v47, v6, v7                                  // 000000006E58: 685E0F06
	v_readlane_b32 s82, v3, 4                                  // 000000006E5C: D2890052 00010903
	s_lshr_b32 s61, s82, 24                                    // 000000006E64: 8F3D9852
	s_and_b32 s82, s82, 0xffffff                               // 000000006E68: 8652FF52 00FFFFFF
	s_mul_i32 s82, s82, s71                                    // 000000006E70: 92524752
	s_mul_i32 s61, s60, s61                                    // 000000006E74: 923D3D3C
	s_add_u32 s82, s82, s61                                    // 000000006E78: 80523D52
	v_mul_lo_u32 v6, v5, s82                                   // 000000006E7C: D2850006 0000A505
	v_readlane_b32 s82, v3, 5                                  // 000000006E84: D2890052 00010B03
	s_lshr_b32 s61, s82, 24                                    // 000000006E8C: 8F3D9852
	s_and_b32 s82, s82, 0xffffff                               // 000000006E90: 8652FF52 00FFFFFF
	s_mul_i32 s82, s82, s71                                    // 000000006E98: 92524752
	s_mul_i32 s61, s60, s61                                    // 000000006E9C: 923D3D3C
	s_add_u32 s82, s82, s61                                    // 000000006EA0: 80523D52
	v_mul_lo_u32 v7, v4, s82                                   // 000000006EA4: D2850007 0000A504
	v_add_u32_e32 v48, v6, v7                                  // 000000006EAC: 68600F06
	v_readlane_b32 s82, v3, 6                                  // 000000006EB0: D2890052 00010D03
	s_lshr_b32 s61, s82, 24                                    // 000000006EB8: 8F3D9852
	s_and_b32 s82, s82, 0xffffff                               // 000000006EBC: 8652FF52 00FFFFFF
	s_mul_i32 s82, s82, s71                                    // 000000006EC4: 92524752
	s_mul_i32 s61, s60, s61                                    // 000000006EC8: 923D3D3C
	s_add_u32 s82, s82, s61                                    // 000000006ECC: 80523D52
	v_mul_lo_u32 v6, v5, s82                                   // 000000006ED0: D2850006 0000A505
	v_readlane_b32 s82, v3, 7                                  // 000000006ED8: D2890052 00010F03
	s_lshr_b32 s61, s82, 24                                    // 000000006EE0: 8F3D9852
	s_and_b32 s82, s82, 0xffffff                               // 000000006EE4: 8652FF52 00FFFFFF
	s_mul_i32 s82, s82, s71                                    // 000000006EEC: 92524752
	s_mul_i32 s61, s60, s61                                    // 000000006EF0: 923D3D3C
	s_add_u32 s82, s82, s61                                    // 000000006EF4: 80523D52
	v_mul_lo_u32 v7, v4, s82                                   // 000000006EF8: D2850007 0000A504
	v_add_u32_e32 v49, v6, v7                                  // 000000006F00: 68620F06
	v_readlane_b32 s82, v3, 8                                  // 000000006F04: D2890052 00011103
	s_lshr_b32 s61, s82, 24                                    // 000000006F0C: 8F3D9852
	s_and_b32 s82, s82, 0xffffff                               // 000000006F10: 8652FF52 00FFFFFF
	s_mul_i32 s82, s82, s71                                    // 000000006F18: 92524752
	s_mul_i32 s61, s60, s61                                    // 000000006F1C: 923D3D3C
	s_add_u32 s82, s82, s61                                    // 000000006F20: 80523D52
	v_mul_lo_u32 v6, v5, s82                                   // 000000006F24: D2850006 0000A505
	v_readlane_b32 s82, v3, 9                                  // 000000006F2C: D2890052 00011303
	s_lshr_b32 s61, s82, 24                                    // 000000006F34: 8F3D9852
	s_and_b32 s82, s82, 0xffffff                               // 000000006F38: 8652FF52 00FFFFFF
	s_mul_i32 s82, s82, s71                                    // 000000006F40: 92524752
	s_mul_i32 s61, s60, s61                                    // 000000006F44: 923D3D3C
	s_add_u32 s82, s82, s61                                    // 000000006F48: 80523D52
	v_mul_lo_u32 v7, v4, s82                                   // 000000006F4C: D2850007 0000A504
	v_add_u32_e32 v50, v6, v7                                  // 000000006F54: 68640F06
	v_readlane_b32 s82, v3, 10                                 // 000000006F58: D2890052 00011503
	s_lshr_b32 s61, s82, 24                                    // 000000006F60: 8F3D9852
	s_and_b32 s82, s82, 0xffffff                               // 000000006F64: 8652FF52 00FFFFFF
	s_mul_i32 s82, s82, s71                                    // 000000006F6C: 92524752
	s_mul_i32 s61, s60, s61                                    // 000000006F70: 923D3D3C
	s_add_u32 s82, s82, s61                                    // 000000006F74: 80523D52
	v_mul_lo_u32 v6, v5, s82                                   // 000000006F78: D2850006 0000A505
	v_readlane_b32 s82, v3, 11                                 // 000000006F80: D2890052 00011703
	s_lshr_b32 s61, s82, 24                                    // 000000006F88: 8F3D9852
	s_and_b32 s82, s82, 0xffffff                               // 000000006F8C: 8652FF52 00FFFFFF
	s_mul_i32 s82, s82, s71                                    // 000000006F94: 92524752
	s_mul_i32 s61, s60, s61                                    // 000000006F98: 923D3D3C
	s_add_u32 s82, s82, s61                                    // 000000006F9C: 80523D52
	v_mul_lo_u32 v7, v4, s82                                   // 000000006FA0: D2850007 0000A504
	v_add_u32_e32 v51, v6, v7                                  // 000000006FA8: 68660F06
	v_readlane_b32 s82, v3, 12                                 // 000000006FAC: D2890052 00011903
	s_lshr_b32 s61, s82, 24                                    // 000000006FB4: 8F3D9852
	s_and_b32 s82, s82, 0xffffff                               // 000000006FB8: 8652FF52 00FFFFFF
	s_mul_i32 s82, s82, s71                                    // 000000006FC0: 92524752
	s_mul_i32 s61, s60, s61                                    // 000000006FC4: 923D3D3C
	s_add_u32 s82, s82, s61                                    // 000000006FC8: 80523D52
	v_mul_lo_u32 v6, v5, s82                                   // 000000006FCC: D2850006 0000A505
	v_readlane_b32 s82, v3, 13                                 // 000000006FD4: D2890052 00011B03
	s_lshr_b32 s61, s82, 24                                    // 000000006FDC: 8F3D9852
	s_and_b32 s82, s82, 0xffffff                               // 000000006FE0: 8652FF52 00FFFFFF
	s_mul_i32 s82, s82, s71                                    // 000000006FE8: 92524752
	s_mul_i32 s61, s60, s61                                    // 000000006FEC: 923D3D3C
	s_add_u32 s82, s82, s61                                    // 000000006FF0: 80523D52
	v_mul_lo_u32 v7, v4, s82                                   // 000000006FF4: D2850007 0000A504
	v_add_u32_e32 v52, v6, v7                                  // 000000006FFC: 68680F06
	v_readlane_b32 s82, v3, 14                                 // 000000007000: D2890052 00011D03
	s_lshr_b32 s61, s82, 24                                    // 000000007008: 8F3D9852
	s_and_b32 s82, s82, 0xffffff                               // 00000000700C: 8652FF52 00FFFFFF
	s_mul_i32 s82, s82, s71                                    // 000000007014: 92524752
	s_mul_i32 s61, s60, s61                                    // 000000007018: 923D3D3C
	s_add_u32 s82, s82, s61                                    // 00000000701C: 80523D52
	v_mul_lo_u32 v6, v5, s82                                   // 000000007020: D2850006 0000A505
	v_readlane_b32 s82, v3, 15                                 // 000000007028: D2890052 00011F03
	s_lshr_b32 s61, s82, 24                                    // 000000007030: 8F3D9852
	s_and_b32 s82, s82, 0xffffff                               // 000000007034: 8652FF52 00FFFFFF
	s_mul_i32 s82, s82, s71                                    // 00000000703C: 92524752
	s_mul_i32 s61, s60, s61                                    // 000000007040: 923D3D3C
	s_add_u32 s82, s82, s61                                    // 000000007044: 80523D52
	v_mul_lo_u32 v7, v4, s82                                   // 000000007048: D2850007 0000A504
	v_add_u32_e32 v53, v6, v7                                  // 000000007050: 686A0F06
	v_and_b32_e32 v4, 31, v0                                   // 000000007054: 2608009F
	v_lshrrev_b32_e32 v4, 1, v4                                // 000000007058: 20080881
	s_cmp_eq_u32 s88, 0                                        // 00000000705C: BF068058
	s_cselect_b32 s61, 2, 4                                    // 000000007060: 853D8482
	v_mul_lo_u32 v4, v4, s61                                   // 000000007064: D2850004 00007B04
	v_and_b32_e64 v5, v0, 1                                    // 00000000706C: D1130005 00010300
	v_add_u32_e32 v4, v4, v5                                   // 000000007074: 68080B04
	v_lshlrev_b32_e32 v4, 2, v4                                // 000000007078: 24080882
	v_add_u32_e32 v46, v46, v4                                 // 00000000707C: 685C092E
	v_add_u32_e32 v47, v47, v4                                 // 000000007080: 685E092F
	v_add_u32_e32 v48, v48, v4                                 // 000000007084: 68600930
	v_add_u32_e32 v49, v49, v4                                 // 000000007088: 68620931
	v_add_u32_e32 v50, v50, v4                                 // 00000000708C: 68640932
	v_add_u32_e32 v51, v51, v4                                 // 000000007090: 68660933
	v_add_u32_e32 v52, v52, v4                                 // 000000007094: 68680934
	v_add_u32_e32 v53, v53, v4                                 // 000000007098: 686A0935
	s_waitcnt lgkmcnt(0)                                       // 00000000709C: BF8CC07F
	s_barrier                                                  // 0000000070A0: BF8A0000
	ds_read_b32 v56, v21                                       // 0000000070A4: D86C0000 38000015
	ds_read_b32 v57, v21 offset:64                             // 0000000070AC: D86C0040 39000015
	ds_read_b32 v60, v21 offset:2176                           // 0000000070B4: D86C0880 3C000015
	ds_read_b32 v61, v21 offset:2240                           // 0000000070BC: D86C08C0 3D000015
	ds_read_b32 v64, v21 offset:4352                           // 0000000070C4: D86C1100 40000015
	ds_read_b32 v65, v21 offset:4416                           // 0000000070CC: D86C1140 41000015
	ds_read_b32 v68, v21 offset:6528                           // 0000000070D4: D86C1980 44000015
	ds_read_b32 v69, v21 offset:6592                           // 0000000070DC: D86C19C0 45000015
	ds_read_b32 v72, v21 offset:8704                           // 0000000070E4: D86C2200 48000015
	ds_read_b32 v73, v21 offset:8768                           // 0000000070EC: D86C2240 49000015
	ds_read_b32 v76, v21 offset:10880                          // 0000000070F4: D86C2A80 4C000015
	ds_read_b32 v77, v21 offset:10944                          // 0000000070FC: D86C2AC0 4D000015
	ds_read_b32 v80, v21 offset:13056                          // 000000007104: D86C3300 50000015
	ds_read_b32 v81, v21 offset:13120                          // 00000000710C: D86C3340 51000015
	ds_read_b32 v84, v21 offset:15232                          // 000000007114: D86C3B80 54000015
	ds_read_b32 v85, v21 offset:15296                          // 00000000711C: D86C3BC0 55000015
	s_waitcnt lgkmcnt(0)                                       // 000000007124: BF8CC07F
	s_mov_b32 s36, -1                                          // 000000007128: BEA400C1
	s_mov_b32 s37, -1                                          // 00000000712C: BEA500C1
	v_mov_b32_e32 v7, 0                                        // 000000007130: 7E0E0280
	s_mov_b64 exec, s[36:37]                                   // 000000007134: BEFE0124
	v_mov_b32_e32 v6, v46                                      // 000000007138: 7E0C032E
	s_mov_b64 s[60:61], 0                                      // 00000000713C: BEBC0180
	v_readlane_b32 s82, v3, 0                                  // 000000007140: D2890052 00010103
	s_and_b32 s82, s82, 0xffffff                               // 000000007148: 8652FF52 00FFFFFF
	s_cmp_lt_u32 s82, s66                                      // 000000007150: BF0A4252
	s_cselect_b32 s20, s36, s60                                // 000000007154: 85143C24
	v_readlane_b32 s82, v3, 1                                  // 000000007158: D2890052 00010303
	s_and_b32 s82, s82, 0xffffff                               // 000000007160: 8652FF52 00FFFFFF
	s_cmp_lt_u32 s82, s66                                      // 000000007168: BF0A4252
	s_cselect_b32 s21, s36, s60                                // 00000000716C: 85153C24
	s_mov_b64 exec, s[20:21]                                   // 000000007170: BEFE0114
	global_atomic_add_f32 v6, v56, s[8:9]                      // 000000007174: DD348000 00083806
	global_atomic_add_f32 v6, v60, s[8:9] offset:256           // 00000000717C: DD348100 00083C06
	s_mov_b64 exec, s[36:37]                                   // 000000007184: BEFE0124
	v_mov_b32_e32 v6, v47                                      // 000000007188: 7E0C032F
	s_mov_b64 s[60:61], 0                                      // 00000000718C: BEBC0180
	v_readlane_b32 s82, v3, 2                                  // 000000007190: D2890052 00010503
	s_and_b32 s82, s82, 0xffffff                               // 000000007198: 8652FF52 00FFFFFF
	s_cmp_lt_u32 s82, s66                                      // 0000000071A0: BF0A4252
	s_cselect_b32 s20, s36, s60                                // 0000000071A4: 85143C24
	v_readlane_b32 s82, v3, 3                                  // 0000000071A8: D2890052 00010703
	s_and_b32 s82, s82, 0xffffff                               // 0000000071B0: 8652FF52 00FFFFFF
	s_cmp_lt_u32 s82, s66                                      // 0000000071B8: BF0A4252
	s_cselect_b32 s21, s36, s60                                // 0000000071BC: 85153C24
	s_mov_b64 exec, s[20:21]                                   // 0000000071C0: BEFE0114
	global_atomic_add_f32 v6, v57, s[8:9]                      // 0000000071C4: DD348000 00083906
	global_atomic_add_f32 v6, v61, s[8:9] offset:256           // 0000000071CC: DD348100 00083D06
	s_mov_b64 exec, s[36:37]                                   // 0000000071D4: BEFE0124
	v_mov_b32_e32 v6, v48                                      // 0000000071D8: 7E0C0330
	s_mov_b64 s[60:61], 0                                      // 0000000071DC: BEBC0180
	v_readlane_b32 s82, v3, 4                                  // 0000000071E0: D2890052 00010903
	s_and_b32 s82, s82, 0xffffff                               // 0000000071E8: 8652FF52 00FFFFFF
	s_cmp_lt_u32 s82, s66                                      // 0000000071F0: BF0A4252
	s_cselect_b32 s20, s36, s60                                // 0000000071F4: 85143C24
	v_readlane_b32 s82, v3, 5                                  // 0000000071F8: D2890052 00010B03
	s_and_b32 s82, s82, 0xffffff                               // 000000007200: 8652FF52 00FFFFFF
	s_cmp_lt_u32 s82, s66                                      // 000000007208: BF0A4252
	s_cselect_b32 s21, s36, s60                                // 00000000720C: 85153C24
	s_mov_b64 exec, s[20:21]                                   // 000000007210: BEFE0114
	global_atomic_add_f32 v6, v64, s[8:9]                      // 000000007214: DD348000 00084006
	global_atomic_add_f32 v6, v68, s[8:9] offset:256           // 00000000721C: DD348100 00084406
	s_mov_b64 exec, s[36:37]                                   // 000000007224: BEFE0124
	v_mov_b32_e32 v6, v49                                      // 000000007228: 7E0C0331
	s_mov_b64 s[60:61], 0                                      // 00000000722C: BEBC0180
	v_readlane_b32 s82, v3, 6                                  // 000000007230: D2890052 00010D03
	s_and_b32 s82, s82, 0xffffff                               // 000000007238: 8652FF52 00FFFFFF
	s_cmp_lt_u32 s82, s66                                      // 000000007240: BF0A4252
	s_cselect_b32 s20, s36, s60                                // 000000007244: 85143C24
	v_readlane_b32 s82, v3, 7                                  // 000000007248: D2890052 00010F03
	s_and_b32 s82, s82, 0xffffff                               // 000000007250: 8652FF52 00FFFFFF
	s_cmp_lt_u32 s82, s66                                      // 000000007258: BF0A4252
	s_cselect_b32 s21, s36, s60                                // 00000000725C: 85153C24
	s_mov_b64 exec, s[20:21]                                   // 000000007260: BEFE0114
	global_atomic_add_f32 v6, v65, s[8:9]                      // 000000007264: DD348000 00084106
	global_atomic_add_f32 v6, v69, s[8:9] offset:256           // 00000000726C: DD348100 00084506
	s_mov_b64 exec, s[36:37]                                   // 000000007274: BEFE0124
	v_mov_b32_e32 v6, v50                                      // 000000007278: 7E0C0332
	s_mov_b64 s[60:61], 0                                      // 00000000727C: BEBC0180
	v_readlane_b32 s82, v3, 8                                  // 000000007280: D2890052 00011103
	s_and_b32 s82, s82, 0xffffff                               // 000000007288: 8652FF52 00FFFFFF
	s_cmp_lt_u32 s82, s66                                      // 000000007290: BF0A4252
	s_cselect_b32 s20, s36, s60                                // 000000007294: 85143C24
	v_readlane_b32 s82, v3, 9                                  // 000000007298: D2890052 00011303
	s_and_b32 s82, s82, 0xffffff                               // 0000000072A0: 8652FF52 00FFFFFF
	s_cmp_lt_u32 s82, s66                                      // 0000000072A8: BF0A4252
	s_cselect_b32 s21, s36, s60                                // 0000000072AC: 85153C24
	s_mov_b64 exec, s[20:21]                                   // 0000000072B0: BEFE0114
	global_atomic_add_f32 v6, v72, s[8:9]                      // 0000000072B4: DD348000 00084806
	global_atomic_add_f32 v6, v76, s[8:9] offset:256           // 0000000072BC: DD348100 00084C06
	s_mov_b64 exec, s[36:37]                                   // 0000000072C4: BEFE0124
	v_mov_b32_e32 v6, v51                                      // 0000000072C8: 7E0C0333
	s_mov_b64 s[60:61], 0                                      // 0000000072CC: BEBC0180
	v_readlane_b32 s82, v3, 10                                 // 0000000072D0: D2890052 00011503
	s_and_b32 s82, s82, 0xffffff                               // 0000000072D8: 8652FF52 00FFFFFF
	s_cmp_lt_u32 s82, s66                                      // 0000000072E0: BF0A4252
	s_cselect_b32 s20, s36, s60                                // 0000000072E4: 85143C24
	v_readlane_b32 s82, v3, 11                                 // 0000000072E8: D2890052 00011703
	s_and_b32 s82, s82, 0xffffff                               // 0000000072F0: 8652FF52 00FFFFFF
	s_cmp_lt_u32 s82, s66                                      // 0000000072F8: BF0A4252
	s_cselect_b32 s21, s36, s60                                // 0000000072FC: 85153C24
	s_mov_b64 exec, s[20:21]                                   // 000000007300: BEFE0114
	global_atomic_add_f32 v6, v73, s[8:9]                      // 000000007304: DD348000 00084906
	global_atomic_add_f32 v6, v77, s[8:9] offset:256           // 00000000730C: DD348100 00084D06
	s_mov_b64 exec, s[36:37]                                   // 000000007314: BEFE0124
	v_mov_b32_e32 v6, v52                                      // 000000007318: 7E0C0334
	s_mov_b64 s[60:61], 0                                      // 00000000731C: BEBC0180
	v_readlane_b32 s82, v3, 12                                 // 000000007320: D2890052 00011903
	s_and_b32 s82, s82, 0xffffff                               // 000000007328: 8652FF52 00FFFFFF
	s_cmp_lt_u32 s82, s66                                      // 000000007330: BF0A4252
	s_cselect_b32 s20, s36, s60                                // 000000007334: 85143C24
	v_readlane_b32 s82, v3, 13                                 // 000000007338: D2890052 00011B03
	s_and_b32 s82, s82, 0xffffff                               // 000000007340: 8652FF52 00FFFFFF
	s_cmp_lt_u32 s82, s66                                      // 000000007348: BF0A4252
	s_cselect_b32 s21, s36, s60                                // 00000000734C: 85153C24
	s_mov_b64 exec, s[20:21]                                   // 000000007350: BEFE0114
	global_atomic_add_f32 v6, v80, s[8:9]                      // 000000007354: DD348000 00085006
	global_atomic_add_f32 v6, v84, s[8:9] offset:256           // 00000000735C: DD348100 00085406
	s_mov_b64 exec, s[36:37]                                   // 000000007364: BEFE0124
	v_mov_b32_e32 v6, v53                                      // 000000007368: 7E0C0335
	s_mov_b64 s[60:61], 0                                      // 00000000736C: BEBC0180
	v_readlane_b32 s82, v3, 14                                 // 000000007370: D2890052 00011D03
	s_and_b32 s82, s82, 0xffffff                               // 000000007378: 8652FF52 00FFFFFF
	s_cmp_lt_u32 s82, s66                                      // 000000007380: BF0A4252
	s_cselect_b32 s20, s36, s60                                // 000000007384: 85143C24
	v_readlane_b32 s82, v3, 15                                 // 000000007388: D2890052 00011F03
	s_and_b32 s82, s82, 0xffffff                               // 000000007390: 8652FF52 00FFFFFF
	s_cmp_lt_u32 s82, s66                                      // 000000007398: BF0A4252
	s_cselect_b32 s21, s36, s60                                // 00000000739C: 85153C24
	s_mov_b64 exec, s[20:21]                                   // 0000000073A0: BEFE0114
	global_atomic_add_f32 v6, v81, s[8:9]                      // 0000000073A4: DD348000 00085106
	global_atomic_add_f32 v6, v85, s[8:9] offset:256           // 0000000073AC: DD348100 00085506
	s_mov_b64 exec, s[36:37]                                   // 0000000073B4: BEFE0124
	ds_write_b64 v20, v[58:59]                                 // 0000000073B8: D89A0000 00003A14
	ds_write_b64 v20, v[62:63] offset:4352                     // 0000000073C0: D89A1100 00003E14
	ds_write_b64 v20, v[66:67] offset:8704                     // 0000000073C8: D89A2200 00004214
	ds_write_b64 v20, v[70:71] offset:13056                    // 0000000073D0: D89A3300 00004614
	ds_write_b64 v20, v[74:75] offset:2176                     // 0000000073D8: D89A0880 00004A14
	ds_write_b64 v20, v[78:79] offset:6528                     // 0000000073E0: D89A1980 00004E14
	ds_write_b64 v20, v[82:83] offset:10880                    // 0000000073E8: D89A2A80 00005214
	ds_write_b64 v20, v[86:87] offset:15232                    // 0000000073F0: D89A3B80 00005614
	s_waitcnt lgkmcnt(0)                                       // 0000000073F8: BF8CC07F
	s_barrier                                                  // 0000000073FC: BF8A0000
	ds_read_b32 v58, v21                                       // 000000007400: D86C0000 3A000015
	ds_read_b32 v59, v21 offset:64                             // 000000007408: D86C0040 3B000015
	ds_read_b32 v62, v21 offset:2176                           // 000000007410: D86C0880 3E000015
	ds_read_b32 v63, v21 offset:2240                           // 000000007418: D86C08C0 3F000015
	ds_read_b32 v66, v21 offset:4352                           // 000000007420: D86C1100 42000015
	ds_read_b32 v67, v21 offset:4416                           // 000000007428: D86C1140 43000015
	ds_read_b32 v70, v21 offset:6528                           // 000000007430: D86C1980 46000015
	ds_read_b32 v71, v21 offset:6592                           // 000000007438: D86C19C0 47000015
	ds_read_b32 v74, v21 offset:8704                           // 000000007440: D86C2200 4A000015
	ds_read_b32 v75, v21 offset:8768                           // 000000007448: D86C2240 4B000015
	ds_read_b32 v78, v21 offset:10880                          // 000000007450: D86C2A80 4E000015
	ds_read_b32 v79, v21 offset:10944                          // 000000007458: D86C2AC0 4F000015
	ds_read_b32 v82, v21 offset:13056                          // 000000007460: D86C3300 52000015
	ds_read_b32 v83, v21 offset:13120                          // 000000007468: D86C3340 53000015
	ds_read_b32 v86, v21 offset:15232                          // 000000007470: D86C3B80 56000015
	ds_read_b32 v87, v21 offset:15296                          // 000000007478: D86C3BC0 57000015
	s_waitcnt lgkmcnt(0)                                       // 000000007480: BF8CC07F
	v_mov_b32_e32 v7, 0                                        // 000000007484: 7E0E0280
	s_mov_b64 exec, s[36:37]                                   // 000000007488: BEFE0124
	v_mov_b32_e32 v6, v46                                      // 00000000748C: 7E0C032E
	s_mov_b64 s[60:61], 0                                      // 000000007490: BEBC0180
	v_readlane_b32 s82, v3, 0                                  // 000000007494: D2890052 00010103
	s_and_b32 s82, s82, 0xffffff                               // 00000000749C: 8652FF52 00FFFFFF
	s_cmp_lt_u32 s82, s66                                      // 0000000074A4: BF0A4252
	s_cselect_b32 s20, s36, s60                                // 0000000074A8: 85143C24
	v_readlane_b32 s82, v3, 1                                  // 0000000074AC: D2890052 00010303
	s_and_b32 s82, s82, 0xffffff                               // 0000000074B4: 8652FF52 00FFFFFF
	s_cmp_lt_u32 s82, s66                                      // 0000000074BC: BF0A4252
	s_cselect_b32 s21, s36, s60                                // 0000000074C0: 85153C24
	s_mov_b64 exec, s[20:21]                                   // 0000000074C4: BEFE0114
	global_atomic_add_f32 v6, v58, s[8:9] offset:8             // 0000000074C8: DD348008 00083A06
	global_atomic_add_f32 v6, v62, s[8:9] offset:264           // 0000000074D0: DD348108 00083E06
	s_mov_b64 exec, s[36:37]                                   // 0000000074D8: BEFE0124
	v_mov_b32_e32 v6, v47                                      // 0000000074DC: 7E0C032F
	s_mov_b64 s[60:61], 0                                      // 0000000074E0: BEBC0180
	v_readlane_b32 s82, v3, 2                                  // 0000000074E4: D2890052 00010503
	s_and_b32 s82, s82, 0xffffff                               // 0000000074EC: 8652FF52 00FFFFFF
	s_cmp_lt_u32 s82, s66                                      // 0000000074F4: BF0A4252
	s_cselect_b32 s20, s36, s60                                // 0000000074F8: 85143C24
	v_readlane_b32 s82, v3, 3                                  // 0000000074FC: D2890052 00010703
	s_and_b32 s82, s82, 0xffffff                               // 000000007504: 8652FF52 00FFFFFF
	s_cmp_lt_u32 s82, s66                                      // 00000000750C: BF0A4252
	s_cselect_b32 s21, s36, s60                                // 000000007510: 85153C24
	s_mov_b64 exec, s[20:21]                                   // 000000007514: BEFE0114
	global_atomic_add_f32 v6, v59, s[8:9] offset:8             // 000000007518: DD348008 00083B06
	global_atomic_add_f32 v6, v63, s[8:9] offset:264           // 000000007520: DD348108 00083F06
	s_mov_b64 exec, s[36:37]                                   // 000000007528: BEFE0124
	v_mov_b32_e32 v6, v48                                      // 00000000752C: 7E0C0330
	s_mov_b64 s[60:61], 0                                      // 000000007530: BEBC0180
	v_readlane_b32 s82, v3, 4                                  // 000000007534: D2890052 00010903
	s_and_b32 s82, s82, 0xffffff                               // 00000000753C: 8652FF52 00FFFFFF
	s_cmp_lt_u32 s82, s66                                      // 000000007544: BF0A4252
	s_cselect_b32 s20, s36, s60                                // 000000007548: 85143C24
	v_readlane_b32 s82, v3, 5                                  // 00000000754C: D2890052 00010B03
	s_and_b32 s82, s82, 0xffffff                               // 000000007554: 8652FF52 00FFFFFF
	s_cmp_lt_u32 s82, s66                                      // 00000000755C: BF0A4252
	s_cselect_b32 s21, s36, s60                                // 000000007560: 85153C24
	s_mov_b64 exec, s[20:21]                                   // 000000007564: BEFE0114
	global_atomic_add_f32 v6, v66, s[8:9] offset:8             // 000000007568: DD348008 00084206
	global_atomic_add_f32 v6, v70, s[8:9] offset:264           // 000000007570: DD348108 00084606
	s_mov_b64 exec, s[36:37]                                   // 000000007578: BEFE0124
	v_mov_b32_e32 v6, v49                                      // 00000000757C: 7E0C0331
	s_mov_b64 s[60:61], 0                                      // 000000007580: BEBC0180
	v_readlane_b32 s82, v3, 6                                  // 000000007584: D2890052 00010D03
	s_and_b32 s82, s82, 0xffffff                               // 00000000758C: 8652FF52 00FFFFFF
	s_cmp_lt_u32 s82, s66                                      // 000000007594: BF0A4252
	s_cselect_b32 s20, s36, s60                                // 000000007598: 85143C24
	v_readlane_b32 s82, v3, 7                                  // 00000000759C: D2890052 00010F03
	s_and_b32 s82, s82, 0xffffff                               // 0000000075A4: 8652FF52 00FFFFFF
	s_cmp_lt_u32 s82, s66                                      // 0000000075AC: BF0A4252
	s_cselect_b32 s21, s36, s60                                // 0000000075B0: 85153C24
	s_mov_b64 exec, s[20:21]                                   // 0000000075B4: BEFE0114
	global_atomic_add_f32 v6, v67, s[8:9] offset:8             // 0000000075B8: DD348008 00084306
	global_atomic_add_f32 v6, v71, s[8:9] offset:264           // 0000000075C0: DD348108 00084706
	s_mov_b64 exec, s[36:37]                                   // 0000000075C8: BEFE0124
	v_mov_b32_e32 v6, v50                                      // 0000000075CC: 7E0C0332
	s_mov_b64 s[60:61], 0                                      // 0000000075D0: BEBC0180
	v_readlane_b32 s82, v3, 8                                  // 0000000075D4: D2890052 00011103
	s_and_b32 s82, s82, 0xffffff                               // 0000000075DC: 8652FF52 00FFFFFF
	s_cmp_lt_u32 s82, s66                                      // 0000000075E4: BF0A4252
	s_cselect_b32 s20, s36, s60                                // 0000000075E8: 85143C24
	v_readlane_b32 s82, v3, 9                                  // 0000000075EC: D2890052 00011303
	s_and_b32 s82, s82, 0xffffff                               // 0000000075F4: 8652FF52 00FFFFFF
	s_cmp_lt_u32 s82, s66                                      // 0000000075FC: BF0A4252
	s_cselect_b32 s21, s36, s60                                // 000000007600: 85153C24
	s_mov_b64 exec, s[20:21]                                   // 000000007604: BEFE0114
	global_atomic_add_f32 v6, v74, s[8:9] offset:8             // 000000007608: DD348008 00084A06
	global_atomic_add_f32 v6, v78, s[8:9] offset:264           // 000000007610: DD348108 00084E06
	s_mov_b64 exec, s[36:37]                                   // 000000007618: BEFE0124
	v_mov_b32_e32 v6, v51                                      // 00000000761C: 7E0C0333
	s_mov_b64 s[60:61], 0                                      // 000000007620: BEBC0180
	v_readlane_b32 s82, v3, 10                                 // 000000007624: D2890052 00011503
	s_and_b32 s82, s82, 0xffffff                               // 00000000762C: 8652FF52 00FFFFFF
	s_cmp_lt_u32 s82, s66                                      // 000000007634: BF0A4252
	s_cselect_b32 s20, s36, s60                                // 000000007638: 85143C24
	v_readlane_b32 s82, v3, 11                                 // 00000000763C: D2890052 00011703
	s_and_b32 s82, s82, 0xffffff                               // 000000007644: 8652FF52 00FFFFFF
	s_cmp_lt_u32 s82, s66                                      // 00000000764C: BF0A4252
	s_cselect_b32 s21, s36, s60                                // 000000007650: 85153C24
	s_mov_b64 exec, s[20:21]                                   // 000000007654: BEFE0114
	global_atomic_add_f32 v6, v75, s[8:9] offset:8             // 000000007658: DD348008 00084B06
	global_atomic_add_f32 v6, v79, s[8:9] offset:264           // 000000007660: DD348108 00084F06
	s_mov_b64 exec, s[36:37]                                   // 000000007668: BEFE0124
	v_mov_b32_e32 v6, v52                                      // 00000000766C: 7E0C0334
	s_mov_b64 s[60:61], 0                                      // 000000007670: BEBC0180
	v_readlane_b32 s82, v3, 12                                 // 000000007674: D2890052 00011903
	s_and_b32 s82, s82, 0xffffff                               // 00000000767C: 8652FF52 00FFFFFF
	s_cmp_lt_u32 s82, s66                                      // 000000007684: BF0A4252
	s_cselect_b32 s20, s36, s60                                // 000000007688: 85143C24
	v_readlane_b32 s82, v3, 13                                 // 00000000768C: D2890052 00011B03
	s_and_b32 s82, s82, 0xffffff                               // 000000007694: 8652FF52 00FFFFFF
	s_cmp_lt_u32 s82, s66                                      // 00000000769C: BF0A4252
	s_cselect_b32 s21, s36, s60                                // 0000000076A0: 85153C24
	s_mov_b64 exec, s[20:21]                                   // 0000000076A4: BEFE0114
	global_atomic_add_f32 v6, v82, s[8:9] offset:8             // 0000000076A8: DD348008 00085206
	global_atomic_add_f32 v6, v86, s[8:9] offset:264           // 0000000076B0: DD348108 00085606
	s_mov_b64 exec, s[36:37]                                   // 0000000076B8: BEFE0124
	v_mov_b32_e32 v6, v53                                      // 0000000076BC: 7E0C0335
	s_mov_b64 s[60:61], 0                                      // 0000000076C0: BEBC0180
	v_readlane_b32 s82, v3, 14                                 // 0000000076C4: D2890052 00011D03
	s_and_b32 s82, s82, 0xffffff                               // 0000000076CC: 8652FF52 00FFFFFF
	s_cmp_lt_u32 s82, s66                                      // 0000000076D4: BF0A4252
	s_cselect_b32 s20, s36, s60                                // 0000000076D8: 85143C24
	v_readlane_b32 s82, v3, 15                                 // 0000000076DC: D2890052 00011F03
	s_and_b32 s82, s82, 0xffffff                               // 0000000076E4: 8652FF52 00FFFFFF
	s_cmp_lt_u32 s82, s66                                      // 0000000076EC: BF0A4252
	s_cselect_b32 s21, s36, s60                                // 0000000076F0: 85153C24
	s_mov_b64 exec, s[20:21]                                   // 0000000076F4: BEFE0114
	global_atomic_add_f32 v6, v83, s[8:9] offset:8             // 0000000076F8: DD348008 00085306
	global_atomic_add_f32 v6, v87, s[8:9] offset:264           // 000000007700: DD348108 00085706
	s_mov_b64 exec, s[36:37]                                   // 000000007708: BEFE0124
	ds_write_b64 v20, v[88:89]                                 // 00000000770C: D89A0000 00005814
	ds_write_b64 v20, v[92:93] offset:4352                     // 000000007714: D89A1100 00005C14
	ds_write_b64 v20, v[96:97] offset:8704                     // 00000000771C: D89A2200 00006014
	ds_write_b64 v20, v[100:101] offset:13056                  // 000000007724: D89A3300 00006414
	ds_write_b64 v20, v[104:105] offset:2176                   // 00000000772C: D89A0880 00006814
	ds_write_b64 v20, v[108:109] offset:6528                   // 000000007734: D89A1980 00006C14
	ds_write_b64 v20, v[112:113] offset:10880                  // 00000000773C: D89A2A80 00007014
	ds_write_b64 v20, v[116:117] offset:15232                  // 000000007744: D89A3B80 00007414
	s_waitcnt lgkmcnt(0)                                       // 00000000774C: BF8CC07F
	s_barrier                                                  // 000000007750: BF8A0000
	ds_read_b32 v88, v21                                       // 000000007754: D86C0000 58000015
	ds_read_b32 v89, v21 offset:64                             // 00000000775C: D86C0040 59000015
	ds_read_b32 v92, v21 offset:2176                           // 000000007764: D86C0880 5C000015
	ds_read_b32 v93, v21 offset:2240                           // 00000000776C: D86C08C0 5D000015
	ds_read_b32 v96, v21 offset:4352                           // 000000007774: D86C1100 60000015
	ds_read_b32 v97, v21 offset:4416                           // 00000000777C: D86C1140 61000015
	ds_read_b32 v100, v21 offset:6528                          // 000000007784: D86C1980 64000015
	ds_read_b32 v101, v21 offset:6592                          // 00000000778C: D86C19C0 65000015
	ds_read_b32 v104, v21 offset:8704                          // 000000007794: D86C2200 68000015
	ds_read_b32 v105, v21 offset:8768                          // 00000000779C: D86C2240 69000015
	ds_read_b32 v108, v21 offset:10880                         // 0000000077A4: D86C2A80 6C000015
	ds_read_b32 v109, v21 offset:10944                         // 0000000077AC: D86C2AC0 6D000015
	ds_read_b32 v112, v21 offset:13056                         // 0000000077B4: D86C3300 70000015
	ds_read_b32 v113, v21 offset:13120                         // 0000000077BC: D86C3340 71000015
	ds_read_b32 v116, v21 offset:15232                         // 0000000077C4: D86C3B80 74000015
	ds_read_b32 v117, v21 offset:15296                         // 0000000077CC: D86C3BC0 75000015
	s_mul_i32 s60, s65, 4                                      // 0000000077D4: 923C8441
	s_add_u32 s8, s60, s8                                      // 0000000077D8: 8008083C
	s_addc_u32 s9, 0, s9                                       // 0000000077DC: 82090980
	s_waitcnt lgkmcnt(0)                                       // 0000000077E0: BF8CC07F
	v_mov_b32_e32 v7, 0                                        // 0000000077E4: 7E0E0280
	s_mov_b64 exec, s[36:37]                                   // 0000000077E8: BEFE0124
	v_mov_b32_e32 v6, v46                                      // 0000000077EC: 7E0C032E
	s_mov_b64 s[60:61], 0                                      // 0000000077F0: BEBC0180
	v_readlane_b32 s82, v3, 0                                  // 0000000077F4: D2890052 00010103
	s_and_b32 s82, s82, 0xffffff                               // 0000000077FC: 8652FF52 00FFFFFF
	s_cmp_lt_u32 s82, s66                                      // 000000007804: BF0A4252
	s_cselect_b32 s20, s36, s60                                // 000000007808: 85143C24
	v_readlane_b32 s82, v3, 1                                  // 00000000780C: D2890052 00010303
	s_and_b32 s82, s82, 0xffffff                               // 000000007814: 8652FF52 00FFFFFF
	s_cmp_lt_u32 s82, s66                                      // 00000000781C: BF0A4252
	s_cselect_b32 s21, s36, s60                                // 000000007820: 85153C24
	s_mov_b64 exec, s[20:21]                                   // 000000007824: BEFE0114
	global_atomic_add_f32 v6, v88, s[8:9]                      // 000000007828: DD348000 00085806
	global_atomic_add_f32 v6, v92, s[8:9] offset:256           // 000000007830: DD348100 00085C06
	s_mov_b64 exec, s[36:37]                                   // 000000007838: BEFE0124
	v_mov_b32_e32 v6, v47                                      // 00000000783C: 7E0C032F
	s_mov_b64 s[60:61], 0                                      // 000000007840: BEBC0180
	v_readlane_b32 s82, v3, 2                                  // 000000007844: D2890052 00010503
	s_and_b32 s82, s82, 0xffffff                               // 00000000784C: 8652FF52 00FFFFFF
	s_cmp_lt_u32 s82, s66                                      // 000000007854: BF0A4252
	s_cselect_b32 s20, s36, s60                                // 000000007858: 85143C24
	v_readlane_b32 s82, v3, 3                                  // 00000000785C: D2890052 00010703
	s_and_b32 s82, s82, 0xffffff                               // 000000007864: 8652FF52 00FFFFFF
	s_cmp_lt_u32 s82, s66                                      // 00000000786C: BF0A4252
	s_cselect_b32 s21, s36, s60                                // 000000007870: 85153C24
	s_mov_b64 exec, s[20:21]                                   // 000000007874: BEFE0114
	global_atomic_add_f32 v6, v89, s[8:9]                      // 000000007878: DD348000 00085906
	global_atomic_add_f32 v6, v93, s[8:9] offset:256           // 000000007880: DD348100 00085D06
	s_mov_b64 exec, s[36:37]                                   // 000000007888: BEFE0124
	v_mov_b32_e32 v6, v48                                      // 00000000788C: 7E0C0330
	s_mov_b64 s[60:61], 0                                      // 000000007890: BEBC0180
	v_readlane_b32 s82, v3, 4                                  // 000000007894: D2890052 00010903
	s_and_b32 s82, s82, 0xffffff                               // 00000000789C: 8652FF52 00FFFFFF
	s_cmp_lt_u32 s82, s66                                      // 0000000078A4: BF0A4252
	s_cselect_b32 s20, s36, s60                                // 0000000078A8: 85143C24
	v_readlane_b32 s82, v3, 5                                  // 0000000078AC: D2890052 00010B03
	s_and_b32 s82, s82, 0xffffff                               // 0000000078B4: 8652FF52 00FFFFFF
	s_cmp_lt_u32 s82, s66                                      // 0000000078BC: BF0A4252
	s_cselect_b32 s21, s36, s60                                // 0000000078C0: 85153C24
	s_mov_b64 exec, s[20:21]                                   // 0000000078C4: BEFE0114
	global_atomic_add_f32 v6, v96, s[8:9]                      // 0000000078C8: DD348000 00086006
	global_atomic_add_f32 v6, v100, s[8:9] offset:256          // 0000000078D0: DD348100 00086406
	s_mov_b64 exec, s[36:37]                                   // 0000000078D8: BEFE0124
	v_mov_b32_e32 v6, v49                                      // 0000000078DC: 7E0C0331
	s_mov_b64 s[60:61], 0                                      // 0000000078E0: BEBC0180
	v_readlane_b32 s82, v3, 6                                  // 0000000078E4: D2890052 00010D03
	s_and_b32 s82, s82, 0xffffff                               // 0000000078EC: 8652FF52 00FFFFFF
	s_cmp_lt_u32 s82, s66                                      // 0000000078F4: BF0A4252
	s_cselect_b32 s20, s36, s60                                // 0000000078F8: 85143C24
	v_readlane_b32 s82, v3, 7                                  // 0000000078FC: D2890052 00010F03
	s_and_b32 s82, s82, 0xffffff                               // 000000007904: 8652FF52 00FFFFFF
	s_cmp_lt_u32 s82, s66                                      // 00000000790C: BF0A4252
	s_cselect_b32 s21, s36, s60                                // 000000007910: 85153C24
	s_mov_b64 exec, s[20:21]                                   // 000000007914: BEFE0114
	global_atomic_add_f32 v6, v97, s[8:9]                      // 000000007918: DD348000 00086106
	global_atomic_add_f32 v6, v101, s[8:9] offset:256          // 000000007920: DD348100 00086506
	s_mov_b64 exec, s[36:37]                                   // 000000007928: BEFE0124
	v_mov_b32_e32 v6, v50                                      // 00000000792C: 7E0C0332
	s_mov_b64 s[60:61], 0                                      // 000000007930: BEBC0180
	v_readlane_b32 s82, v3, 8                                  // 000000007934: D2890052 00011103
	s_and_b32 s82, s82, 0xffffff                               // 00000000793C: 8652FF52 00FFFFFF
	s_cmp_lt_u32 s82, s66                                      // 000000007944: BF0A4252
	s_cselect_b32 s20, s36, s60                                // 000000007948: 85143C24
	v_readlane_b32 s82, v3, 9                                  // 00000000794C: D2890052 00011303
	s_and_b32 s82, s82, 0xffffff                               // 000000007954: 8652FF52 00FFFFFF
	s_cmp_lt_u32 s82, s66                                      // 00000000795C: BF0A4252
	s_cselect_b32 s21, s36, s60                                // 000000007960: 85153C24
	s_mov_b64 exec, s[20:21]                                   // 000000007964: BEFE0114
	global_atomic_add_f32 v6, v104, s[8:9]                     // 000000007968: DD348000 00086806
	global_atomic_add_f32 v6, v108, s[8:9] offset:256          // 000000007970: DD348100 00086C06
	s_mov_b64 exec, s[36:37]                                   // 000000007978: BEFE0124
	v_mov_b32_e32 v6, v51                                      // 00000000797C: 7E0C0333
	s_mov_b64 s[60:61], 0                                      // 000000007980: BEBC0180
	v_readlane_b32 s82, v3, 10                                 // 000000007984: D2890052 00011503
	s_and_b32 s82, s82, 0xffffff                               // 00000000798C: 8652FF52 00FFFFFF
	s_cmp_lt_u32 s82, s66                                      // 000000007994: BF0A4252
	s_cselect_b32 s20, s36, s60                                // 000000007998: 85143C24
	v_readlane_b32 s82, v3, 11                                 // 00000000799C: D2890052 00011703
	s_and_b32 s82, s82, 0xffffff                               // 0000000079A4: 8652FF52 00FFFFFF
	s_cmp_lt_u32 s82, s66                                      // 0000000079AC: BF0A4252
	s_cselect_b32 s21, s36, s60                                // 0000000079B0: 85153C24
	s_mov_b64 exec, s[20:21]                                   // 0000000079B4: BEFE0114
	global_atomic_add_f32 v6, v105, s[8:9]                     // 0000000079B8: DD348000 00086906
	global_atomic_add_f32 v6, v109, s[8:9] offset:256          // 0000000079C0: DD348100 00086D06
	s_mov_b64 exec, s[36:37]                                   // 0000000079C8: BEFE0124
	v_mov_b32_e32 v6, v52                                      // 0000000079CC: 7E0C0334
	s_mov_b64 s[60:61], 0                                      // 0000000079D0: BEBC0180
	v_readlane_b32 s82, v3, 12                                 // 0000000079D4: D2890052 00011903
	s_and_b32 s82, s82, 0xffffff                               // 0000000079DC: 8652FF52 00FFFFFF
	s_cmp_lt_u32 s82, s66                                      // 0000000079E4: BF0A4252
	s_cselect_b32 s20, s36, s60                                // 0000000079E8: 85143C24
	v_readlane_b32 s82, v3, 13                                 // 0000000079EC: D2890052 00011B03
	s_and_b32 s82, s82, 0xffffff                               // 0000000079F4: 8652FF52 00FFFFFF
	s_cmp_lt_u32 s82, s66                                      // 0000000079FC: BF0A4252
	s_cselect_b32 s21, s36, s60                                // 000000007A00: 85153C24
	s_mov_b64 exec, s[20:21]                                   // 000000007A04: BEFE0114
	global_atomic_add_f32 v6, v112, s[8:9]                     // 000000007A08: DD348000 00087006
	global_atomic_add_f32 v6, v116, s[8:9] offset:256          // 000000007A10: DD348100 00087406
	s_mov_b64 exec, s[36:37]                                   // 000000007A18: BEFE0124
	v_mov_b32_e32 v6, v53                                      // 000000007A1C: 7E0C0335
	s_mov_b64 s[60:61], 0                                      // 000000007A20: BEBC0180
	v_readlane_b32 s82, v3, 14                                 // 000000007A24: D2890052 00011D03
	s_and_b32 s82, s82, 0xffffff                               // 000000007A2C: 8652FF52 00FFFFFF
	s_cmp_lt_u32 s82, s66                                      // 000000007A34: BF0A4252
	s_cselect_b32 s20, s36, s60                                // 000000007A38: 85143C24
	v_readlane_b32 s82, v3, 15                                 // 000000007A3C: D2890052 00011F03
	s_and_b32 s82, s82, 0xffffff                               // 000000007A44: 8652FF52 00FFFFFF
	s_cmp_lt_u32 s82, s66                                      // 000000007A4C: BF0A4252
	s_cselect_b32 s21, s36, s60                                // 000000007A50: 85153C24
	s_mov_b64 exec, s[20:21]                                   // 000000007A54: BEFE0114
	global_atomic_add_f32 v6, v113, s[8:9]                     // 000000007A58: DD348000 00087106
	global_atomic_add_f32 v6, v117, s[8:9] offset:256          // 000000007A60: DD348100 00087506
	s_mov_b64 exec, s[36:37]                                   // 000000007A68: BEFE0124
	ds_write_b64 v20, v[90:91]                                 // 000000007A6C: D89A0000 00005A14
	ds_write_b64 v20, v[94:95] offset:4352                     // 000000007A74: D89A1100 00005E14
	ds_write_b64 v20, v[98:99] offset:8704                     // 000000007A7C: D89A2200 00006214
	ds_write_b64 v20, v[102:103] offset:13056                  // 000000007A84: D89A3300 00006614
	ds_write_b64 v20, v[106:107] offset:2176                   // 000000007A8C: D89A0880 00006A14
	ds_write_b64 v20, v[110:111] offset:6528                   // 000000007A94: D89A1980 00006E14
	ds_write_b64 v20, v[114:115] offset:10880                  // 000000007A9C: D89A2A80 00007214
	ds_write_b64 v20, v[118:119] offset:15232                  // 000000007AA4: D89A3B80 00007614
	s_waitcnt lgkmcnt(0)                                       // 000000007AAC: BF8CC07F
	s_barrier                                                  // 000000007AB0: BF8A0000
	ds_read_b32 v90, v21                                       // 000000007AB4: D86C0000 5A000015
	ds_read_b32 v91, v21 offset:64                             // 000000007ABC: D86C0040 5B000015
	ds_read_b32 v94, v21 offset:2176                           // 000000007AC4: D86C0880 5E000015
	ds_read_b32 v95, v21 offset:2240                           // 000000007ACC: D86C08C0 5F000015
	ds_read_b32 v98, v21 offset:4352                           // 000000007AD4: D86C1100 62000015
	ds_read_b32 v99, v21 offset:4416                           // 000000007ADC: D86C1140 63000015
	ds_read_b32 v102, v21 offset:6528                          // 000000007AE4: D86C1980 66000015
	ds_read_b32 v103, v21 offset:6592                          // 000000007AEC: D86C19C0 67000015
	ds_read_b32 v106, v21 offset:8704                          // 000000007AF4: D86C2200 6A000015
	ds_read_b32 v107, v21 offset:8768                          // 000000007AFC: D86C2240 6B000015
	ds_read_b32 v110, v21 offset:10880                         // 000000007B04: D86C2A80 6E000015
	ds_read_b32 v111, v21 offset:10944                         // 000000007B0C: D86C2AC0 6F000015
	ds_read_b32 v114, v21 offset:13056                         // 000000007B14: D86C3300 72000015
	ds_read_b32 v115, v21 offset:13120                         // 000000007B1C: D86C3340 73000015
	ds_read_b32 v118, v21 offset:15232                         // 000000007B24: D86C3B80 76000015
	ds_read_b32 v119, v21 offset:15296                         // 000000007B2C: D86C3BC0 77000015
	s_waitcnt lgkmcnt(0)                                       // 000000007B34: BF8CC07F
	v_mov_b32_e32 v7, 0                                        // 000000007B38: 7E0E0280
	s_mov_b64 exec, s[36:37]                                   // 000000007B3C: BEFE0124
	v_mov_b32_e32 v6, v46                                      // 000000007B40: 7E0C032E
	s_mov_b64 s[60:61], 0                                      // 000000007B44: BEBC0180
	v_readlane_b32 s82, v3, 0                                  // 000000007B48: D2890052 00010103
	s_and_b32 s82, s82, 0xffffff                               // 000000007B50: 8652FF52 00FFFFFF
	s_cmp_lt_u32 s82, s66                                      // 000000007B58: BF0A4252
	s_cselect_b32 s20, s36, s60                                // 000000007B5C: 85143C24
	v_readlane_b32 s82, v3, 1                                  // 000000007B60: D2890052 00010303
	s_and_b32 s82, s82, 0xffffff                               // 000000007B68: 8652FF52 00FFFFFF
	s_cmp_lt_u32 s82, s66                                      // 000000007B70: BF0A4252
	s_cselect_b32 s21, s36, s60                                // 000000007B74: 85153C24
	s_mov_b64 exec, s[20:21]                                   // 000000007B78: BEFE0114
	global_atomic_add_f32 v6, v90, s[8:9] offset:8             // 000000007B7C: DD348008 00085A06
	global_atomic_add_f32 v6, v94, s[8:9] offset:264           // 000000007B84: DD348108 00085E06
	s_mov_b64 exec, s[36:37]                                   // 000000007B8C: BEFE0124
	v_mov_b32_e32 v6, v47                                      // 000000007B90: 7E0C032F
	s_mov_b64 s[60:61], 0                                      // 000000007B94: BEBC0180
	v_readlane_b32 s82, v3, 2                                  // 000000007B98: D2890052 00010503
	s_and_b32 s82, s82, 0xffffff                               // 000000007BA0: 8652FF52 00FFFFFF
	s_cmp_lt_u32 s82, s66                                      // 000000007BA8: BF0A4252
	s_cselect_b32 s20, s36, s60                                // 000000007BAC: 85143C24
	v_readlane_b32 s82, v3, 3                                  // 000000007BB0: D2890052 00010703
	s_and_b32 s82, s82, 0xffffff                               // 000000007BB8: 8652FF52 00FFFFFF
	s_cmp_lt_u32 s82, s66                                      // 000000007BC0: BF0A4252
	s_cselect_b32 s21, s36, s60                                // 000000007BC4: 85153C24
	s_mov_b64 exec, s[20:21]                                   // 000000007BC8: BEFE0114
	global_atomic_add_f32 v6, v91, s[8:9] offset:8             // 000000007BCC: DD348008 00085B06
	global_atomic_add_f32 v6, v95, s[8:9] offset:264           // 000000007BD4: DD348108 00085F06
	s_mov_b64 exec, s[36:37]                                   // 000000007BDC: BEFE0124
	v_mov_b32_e32 v6, v48                                      // 000000007BE0: 7E0C0330
	s_mov_b64 s[60:61], 0                                      // 000000007BE4: BEBC0180
	v_readlane_b32 s82, v3, 4                                  // 000000007BE8: D2890052 00010903
	s_and_b32 s82, s82, 0xffffff                               // 000000007BF0: 8652FF52 00FFFFFF
	s_cmp_lt_u32 s82, s66                                      // 000000007BF8: BF0A4252
	s_cselect_b32 s20, s36, s60                                // 000000007BFC: 85143C24
	v_readlane_b32 s82, v3, 5                                  // 000000007C00: D2890052 00010B03
	s_and_b32 s82, s82, 0xffffff                               // 000000007C08: 8652FF52 00FFFFFF
	s_cmp_lt_u32 s82, s66                                      // 000000007C10: BF0A4252
	s_cselect_b32 s21, s36, s60                                // 000000007C14: 85153C24
	s_mov_b64 exec, s[20:21]                                   // 000000007C18: BEFE0114
	global_atomic_add_f32 v6, v98, s[8:9] offset:8             // 000000007C1C: DD348008 00086206
	global_atomic_add_f32 v6, v102, s[8:9] offset:264          // 000000007C24: DD348108 00086606
	s_mov_b64 exec, s[36:37]                                   // 000000007C2C: BEFE0124
	v_mov_b32_e32 v6, v49                                      // 000000007C30: 7E0C0331
	s_mov_b64 s[60:61], 0                                      // 000000007C34: BEBC0180
	v_readlane_b32 s82, v3, 6                                  // 000000007C38: D2890052 00010D03
	s_and_b32 s82, s82, 0xffffff                               // 000000007C40: 8652FF52 00FFFFFF
	s_cmp_lt_u32 s82, s66                                      // 000000007C48: BF0A4252
	s_cselect_b32 s20, s36, s60                                // 000000007C4C: 85143C24
	v_readlane_b32 s82, v3, 7                                  // 000000007C50: D2890052 00010F03
	s_and_b32 s82, s82, 0xffffff                               // 000000007C58: 8652FF52 00FFFFFF
	s_cmp_lt_u32 s82, s66                                      // 000000007C60: BF0A4252
	s_cselect_b32 s21, s36, s60                                // 000000007C64: 85153C24
	s_mov_b64 exec, s[20:21]                                   // 000000007C68: BEFE0114
	global_atomic_add_f32 v6, v99, s[8:9] offset:8             // 000000007C6C: DD348008 00086306
	global_atomic_add_f32 v6, v103, s[8:9] offset:264          // 000000007C74: DD348108 00086706
	s_mov_b64 exec, s[36:37]                                   // 000000007C7C: BEFE0124
	v_mov_b32_e32 v6, v50                                      // 000000007C80: 7E0C0332
	s_mov_b64 s[60:61], 0                                      // 000000007C84: BEBC0180
	v_readlane_b32 s82, v3, 8                                  // 000000007C88: D2890052 00011103
	s_and_b32 s82, s82, 0xffffff                               // 000000007C90: 8652FF52 00FFFFFF
	s_cmp_lt_u32 s82, s66                                      // 000000007C98: BF0A4252
	s_cselect_b32 s20, s36, s60                                // 000000007C9C: 85143C24
	v_readlane_b32 s82, v3, 9                                  // 000000007CA0: D2890052 00011303
	s_and_b32 s82, s82, 0xffffff                               // 000000007CA8: 8652FF52 00FFFFFF
	s_cmp_lt_u32 s82, s66                                      // 000000007CB0: BF0A4252
	s_cselect_b32 s21, s36, s60                                // 000000007CB4: 85153C24
	s_mov_b64 exec, s[20:21]                                   // 000000007CB8: BEFE0114
	global_atomic_add_f32 v6, v106, s[8:9] offset:8            // 000000007CBC: DD348008 00086A06
	global_atomic_add_f32 v6, v110, s[8:9] offset:264          // 000000007CC4: DD348108 00086E06
	s_mov_b64 exec, s[36:37]                                   // 000000007CCC: BEFE0124
	v_mov_b32_e32 v6, v51                                      // 000000007CD0: 7E0C0333
	s_mov_b64 s[60:61], 0                                      // 000000007CD4: BEBC0180
	v_readlane_b32 s82, v3, 10                                 // 000000007CD8: D2890052 00011503
	s_and_b32 s82, s82, 0xffffff                               // 000000007CE0: 8652FF52 00FFFFFF
	s_cmp_lt_u32 s82, s66                                      // 000000007CE8: BF0A4252
	s_cselect_b32 s20, s36, s60                                // 000000007CEC: 85143C24
	v_readlane_b32 s82, v3, 11                                 // 000000007CF0: D2890052 00011703
	s_and_b32 s82, s82, 0xffffff                               // 000000007CF8: 8652FF52 00FFFFFF
	s_cmp_lt_u32 s82, s66                                      // 000000007D00: BF0A4252
	s_cselect_b32 s21, s36, s60                                // 000000007D04: 85153C24
	s_mov_b64 exec, s[20:21]                                   // 000000007D08: BEFE0114
	global_atomic_add_f32 v6, v107, s[8:9] offset:8            // 000000007D0C: DD348008 00086B06
	global_atomic_add_f32 v6, v111, s[8:9] offset:264          // 000000007D14: DD348108 00086F06
	s_mov_b64 exec, s[36:37]                                   // 000000007D1C: BEFE0124
	v_mov_b32_e32 v6, v52                                      // 000000007D20: 7E0C0334
	s_mov_b64 s[60:61], 0                                      // 000000007D24: BEBC0180
	v_readlane_b32 s82, v3, 12                                 // 000000007D28: D2890052 00011903
	s_and_b32 s82, s82, 0xffffff                               // 000000007D30: 8652FF52 00FFFFFF
	s_cmp_lt_u32 s82, s66                                      // 000000007D38: BF0A4252
	s_cselect_b32 s20, s36, s60                                // 000000007D3C: 85143C24
	v_readlane_b32 s82, v3, 13                                 // 000000007D40: D2890052 00011B03
	s_and_b32 s82, s82, 0xffffff                               // 000000007D48: 8652FF52 00FFFFFF
	s_cmp_lt_u32 s82, s66                                      // 000000007D50: BF0A4252
	s_cselect_b32 s21, s36, s60                                // 000000007D54: 85153C24
	s_mov_b64 exec, s[20:21]                                   // 000000007D58: BEFE0114
	global_atomic_add_f32 v6, v114, s[8:9] offset:8            // 000000007D5C: DD348008 00087206
	global_atomic_add_f32 v6, v118, s[8:9] offset:264          // 000000007D64: DD348108 00087606
	s_mov_b64 exec, s[36:37]                                   // 000000007D6C: BEFE0124
	v_mov_b32_e32 v6, v53                                      // 000000007D70: 7E0C0335
	s_mov_b64 s[60:61], 0                                      // 000000007D74: BEBC0180
	v_readlane_b32 s82, v3, 14                                 // 000000007D78: D2890052 00011D03
	s_and_b32 s82, s82, 0xffffff                               // 000000007D80: 8652FF52 00FFFFFF
	s_cmp_lt_u32 s82, s66                                      // 000000007D88: BF0A4252
	s_cselect_b32 s20, s36, s60                                // 000000007D8C: 85143C24
	v_readlane_b32 s82, v3, 15                                 // 000000007D90: D2890052 00011F03
	s_and_b32 s82, s82, 0xffffff                               // 000000007D98: 8652FF52 00FFFFFF
	s_cmp_lt_u32 s82, s66                                      // 000000007DA0: BF0A4252
	s_cselect_b32 s21, s36, s60                                // 000000007DA4: 85153C24
	s_mov_b64 exec, s[20:21]                                   // 000000007DA8: BEFE0114
	global_atomic_add_f32 v6, v115, s[8:9] offset:8            // 000000007DAC: DD348008 00087306
	global_atomic_add_f32 v6, v119, s[8:9] offset:264          // 000000007DB4: DD348108 00087706
	s_mov_b64 exec, s[36:37]                                   // 000000007DBC: BEFE0124
	s_branch label_2766                                        // 000000007DC0: BF821272

0000000000007dc4 <label_14F4>:
	s_waitcnt vmcnt(17) lgkmcnt(0)                             // 000000007DC4: BF8C4071
	v_mul_f32_dpp v4, v24, v34 row_newbcast:0 row_mask:0xf bank_mask:0xf// 000000007DC8: 0A0844FA FF015018
	v_mfma_f32_16x16x32_fp8_fp8 v[8:11], a[64:65], a[0:1], 0   // 000000007DD0: D3F30008 1A020140
	buffer_load_dword v25, v22, s[32:35], 0 offen              // 000000007DD8: E0501000 80081916
	buffer_load_dwordx4 a[96:99], v54, s[24:27], 0 offen       // 000000007DE0: E05C1000 80866036
	v_mfma_f32_16x16x32_fp8_fp8 v[8:11], a[66:67], a[2:3], v[8:11]// 000000007DE8: D3F30008 1C220542
	v_mfma_f32_16x16x32_fp8_fp8 v[8:11], a[68:69], a[4:5], v[8:11]// 000000007DF0: D3F30008 1C220944
	v_mfma_f32_16x16x32_fp8_fp8 v[8:11], a[70:71], a[6:7], v[8:11]// 000000007DF8: D3F30008 1C220D46
	v_mfma_f32_16x16x32_fp8_fp8 v[12:15], a[72:73], a[0:1], 0  // 000000007E00: D3F3000C 1A020148
	buffer_load_dwordx4 a[100:103], v54, s[24:27], 0 offen offset:1024// 000000007E08: E05C1400 80866436
	v_mfma_f32_16x16x32_fp8_fp8 v[12:15], a[74:75], a[2:3], v[12:15]// 000000007E10: D3F3000C 1C32054A
	v_mfma_f32_16x16x32_fp8_fp8 v[12:15], a[76:77], a[4:5], v[12:15]// 000000007E18: D3F3000C 1C32094C
	v_mfma_f32_16x16x32_fp8_fp8 v[12:15], a[78:79], a[6:7], v[12:15]// 000000007E20: D3F3000C 1C320D4E
	v_fma_f32 v56, v8, v4, v56                                 // 000000007E28: D1CB0038 04E20908
	v_fma_f32 v57, v9, v4, v57                                 // 000000007E30: D1CB0039 04E60909
	v_fma_f32 v58, v10, v4, v58                                // 000000007E38: D1CB003A 04EA090A
	v_fma_f32 v59, v11, v4, v59                                // 000000007E40: D1CB003B 04EE090B
	v_mul_f32_dpp v6, v24, v35 row_newbcast:0 row_mask:0xf bank_mask:0xf// 000000007E48: 0A0C46FA FF015018
	v_mfma_f32_16x16x32_fp8_fp8 v[8:11], a[64:65], a[8:9], 0   // 000000007E50: D3F30008 1A021140
	buffer_load_dwordx4 a[104:107], v55, s[24:27], 0 offen     // 000000007E58: E05C1000 80866837
	v_mfma_f32_16x16x32_fp8_fp8 v[8:11], a[66:67], a[10:11], v[8:11]// 000000007E60: D3F30008 1C221542
	v_mfma_f32_16x16x32_fp8_fp8 v[8:11], a[68:69], a[12:13], v[8:11]// 000000007E68: D3F30008 1C221944
	v_mfma_f32_16x16x32_fp8_fp8 v[8:11], a[70:71], a[14:15], v[8:11]// 000000007E70: D3F30008 1C221D46
	v_fma_f32 v72, v12, v4, v72                                // 000000007E78: D1CB0048 0522090C
	v_fma_f32 v73, v13, v4, v73                                // 000000007E80: D1CB0049 0526090D
	v_fma_f32 v74, v14, v4, v74                                // 000000007E88: D1CB004A 052A090E
	v_fma_f32 v75, v15, v4, v75                                // 000000007E90: D1CB004B 052E090F
	v_mfma_f32_16x16x32_fp8_fp8 v[12:15], a[72:73], a[8:9], 0  // 000000007E98: D3F3000C 1A021148
	buffer_load_dwordx4 a[108:111], v55, s[24:27], 0 offen offset:1024// 000000007EA0: E05C1400 80866C37
	buffer_load_dword v46, s[20:23], 0 offen lds               // 000000007EA8: E0511000 8005002E
	s_add_u32 m0, 0x100, s50                                   // 000000007EB0: 807C32FF 00000100
	v_mfma_f32_16x16x32_fp8_fp8 v[12:15], a[74:75], a[10:11], v[12:15]// 000000007EB8: D3F3000C 1C32154A
	v_mfma_f32_16x16x32_fp8_fp8 v[12:15], a[76:77], a[12:13], v[12:15]// 000000007EC0: D3F3000C 1C32194C
	buffer_load_dword v47, s[20:23], 0 offen lds               // 000000007EC8: E0511000 8005002F
	s_add_u32 m0, 0x200, s50                                   // 000000007ED0: 807C32FF 00000200
	v_mfma_f32_16x16x32_fp8_fp8 v[12:15], a[78:79], a[14:15], v[12:15]// 000000007ED8: D3F3000C 1C321D4E
	v_fma_f32 v60, v8, v6, v60                                 // 000000007EE0: D1CB003C 04F20D08
	v_fma_f32 v61, v9, v6, v61                                 // 000000007EE8: D1CB003D 04F60D09
	v_fma_f32 v62, v10, v6, v62                                // 000000007EF0: D1CB003E 04FA0D0A
	v_fma_f32 v63, v11, v6, v63                                // 000000007EF8: D1CB003F 04FE0D0B
	v_mul_f32_dpp v4, v24, v36 row_newbcast:0 row_mask:0xf bank_mask:0xf// 000000007F00: 0A0848FA FF015018
	v_mfma_f32_16x16x32_fp8_fp8 v[8:11], a[64:65], a[16:17], 0 // 000000007F08: D3F30008 1A022140
	buffer_load_dword v48, s[20:23], 0 offen lds               // 000000007F10: E0511000 80050030
	s_add_u32 m0, 0x300, s50                                   // 000000007F18: 807C32FF 00000300
	v_mfma_f32_16x16x32_fp8_fp8 v[8:11], a[66:67], a[18:19], v[8:11]// 000000007F20: D3F30008 1C222542
	v_mfma_f32_16x16x32_fp8_fp8 v[8:11], a[68:69], a[20:21], v[8:11]// 000000007F28: D3F30008 1C222944
	buffer_load_dword v49, s[20:23], 0 offen lds               // 000000007F30: E0511000 80050031
	s_add_u32 m0, 0x400, s50                                   // 000000007F38: 807C32FF 00000400
	v_mfma_f32_16x16x32_fp8_fp8 v[8:11], a[70:71], a[22:23], v[8:11]// 000000007F40: D3F30008 1C222D46
	v_fma_f32 v76, v12, v6, v76                                // 000000007F48: D1CB004C 05320D0C
	v_fma_f32 v77, v13, v6, v77                                // 000000007F50: D1CB004D 05360D0D
	v_fma_f32 v78, v14, v6, v78                                // 000000007F58: D1CB004E 053A0D0E
	v_fma_f32 v79, v15, v6, v79                                // 000000007F60: D1CB004F 053E0D0F
	v_mfma_f32_16x16x32_fp8_fp8 v[12:15], a[72:73], a[16:17], 0// 000000007F68: D3F3000C 1A022148
	buffer_load_dword v50, s[20:23], 0 offen lds               // 000000007F70: E0511000 80050032
	s_add_u32 m0, 0x500, s50                                   // 000000007F78: 807C32FF 00000500
	v_mfma_f32_16x16x32_fp8_fp8 v[12:15], a[74:75], a[18:19], v[12:15]// 000000007F80: D3F3000C 1C32254A
	v_mfma_f32_16x16x32_fp8_fp8 v[12:15], a[76:77], a[20:21], v[12:15]// 000000007F88: D3F3000C 1C32294C
	buffer_load_dword v51, s[20:23], 0 offen lds               // 000000007F90: E0511000 80050033
	s_add_u32 m0, 0x600, s50                                   // 000000007F98: 807C32FF 00000600
	v_mfma_f32_16x16x32_fp8_fp8 v[12:15], a[78:79], a[22:23], v[12:15]// 000000007FA0: D3F3000C 1C322D4E
	v_fma_f32 v64, v8, v4, v64                                 // 000000007FA8: D1CB0040 05020908
	v_fma_f32 v65, v9, v4, v65                                 // 000000007FB0: D1CB0041 05060909
	v_fma_f32 v66, v10, v4, v66                                // 000000007FB8: D1CB0042 050A090A
	v_fma_f32 v67, v11, v4, v67                                // 000000007FC0: D1CB0043 050E090B
	v_mul_f32_dpp v6, v24, v37 row_newbcast:0 row_mask:0xf bank_mask:0xf// 000000007FC8: 0A0C4AFA FF015018
	v_mfma_f32_16x16x32_fp8_fp8 v[8:11], a[64:65], a[24:25], 0 // 000000007FD0: D3F30008 1A023140
	buffer_load_dword v52, s[20:23], 0 offen lds               // 000000007FD8: E0511000 80050034
	s_add_u32 m0, 0x700, s50                                   // 000000007FE0: 807C32FF 00000700
	v_mfma_f32_16x16x32_fp8_fp8 v[8:11], a[66:67], a[26:27], v[8:11]// 000000007FE8: D3F30008 1C223542
	v_mfma_f32_16x16x32_fp8_fp8 v[8:11], a[68:69], a[28:29], v[8:11]// 000000007FF0: D3F30008 1C223944
	buffer_load_dword v53, s[20:23], 0 offen lds               // 000000007FF8: E0511000 80050035
	s_add_u32 m0, 0, s48                                       // 000000008000: 807C3080
	v_mfma_f32_16x16x32_fp8_fp8 v[8:11], a[70:71], a[30:31], v[8:11]// 000000008004: D3F30008 1C223D46
	v_fma_f32 v80, v12, v4, v80                                // 00000000800C: D1CB0050 0542090C
	v_fma_f32 v81, v13, v4, v81                                // 000000008014: D1CB0051 0546090D
	v_fma_f32 v82, v14, v4, v82                                // 00000000801C: D1CB0052 054A090E
	v_fma_f32 v83, v15, v4, v83                                // 000000008024: D1CB0053 054E090F
	v_mfma_f32_16x16x32_fp8_fp8 v[12:15], a[72:73], a[24:25], 0// 00000000802C: D3F3000C 1A023148
	buffer_load_dword v42, v30, s[28:31], 0 offen              // 000000008034: E0501000 80072A1E
	v_mfma_f32_16x16x32_fp8_fp8 v[12:15], a[74:75], a[26:27], v[12:15]// 00000000803C: D3F3000C 1C32354A
	v_mfma_f32_16x16x32_fp8_fp8 v[12:15], a[76:77], a[28:29], v[12:15]// 000000008044: D3F3000C 1C32394C
	buffer_load_dword v43, v31, s[28:31], 0 offen              // 00000000804C: E0501000 80072B1F
	v_mfma_f32_16x16x32_fp8_fp8 v[12:15], a[78:79], a[30:31], v[12:15]// 000000008054: D3F3000C 1C323D4E
	v_fma_f32 v68, v8, v6, v68                                 // 00000000805C: D1CB0044 05120D08
	v_fma_f32 v69, v9, v6, v69                                 // 000000008064: D1CB0045 05160D09
	v_fma_f32 v70, v10, v6, v70                                // 00000000806C: D1CB0046 051A0D0A
	v_fma_f32 v71, v11, v6, v71                                // 000000008074: D1CB0047 051E0D0B
	v_fma_f32 v84, v12, v6, v84                                // 00000000807C: D1CB0054 05520D0C
	v_fma_f32 v85, v13, v6, v85                                // 000000008084: D1CB0055 05560D0D
	v_fma_f32 v86, v14, v6, v86                                // 00000000808C: D1CB0056 055A0D0E
	v_fma_f32 v87, v15, v6, v87                                // 000000008094: D1CB0057 055E0D0F
	buffer_load_dword v44, v32, s[28:31], 0 offen              // 00000000809C: E0501000 80072C20
	buffer_load_dword v45, v33, s[28:31], 0 offen              // 0000000080A4: E0501000 80072D21
	s_waitcnt vmcnt(17)                                        // 0000000080AC: BF8C4F71
	s_barrier                                                  // 0000000080B0: BF8A0000
	v_mul_f32_dpp v4, v27, v34 row_newbcast:0 row_mask:0xf bank_mask:0xf// 0000000080B4: 0A0844FA FF01501B
	v_mfma_f32_16x16x32_fp8_fp8 v[8:11], a[80:81], a[0:1], 0   // 0000000080BC: D3F30008 1A020150
	buffer_load_dword v28, v23, s[32:35], 0 offen              // 0000000080C4: E0501000 80081C17
	buffer_load_dwordx4 a[64:67], v54, s[84:87], 0 offen       // 0000000080CC: E05C1000 80954036
	v_mfma_f32_16x16x32_fp8_fp8 v[8:11], a[82:83], a[2:3], v[8:11]// 0000000080D4: D3F30008 1C220552
	v_mfma_f32_16x16x32_fp8_fp8 v[8:11], a[84:85], a[4:5], v[8:11]// 0000000080DC: D3F30008 1C220954
	ds_read_b128 a[32:35], v2 offset:8320                      // 0000000080E4: DBFE2080 20000002
	ds_read_b128 a[36:39], v2 offset:8384                      // 0000000080EC: DBFE20C0 24000002
	v_mfma_f32_16x16x32_fp8_fp8 v[8:11], a[86:87], a[6:7], v[8:11]// 0000000080F4: D3F30008 1C220D56
	v_mfma_f32_16x16x32_fp8_fp8 v[12:15], a[88:89], a[0:1], 0  // 0000000080FC: D3F3000C 1A020158
	buffer_load_dwordx4 a[68:71], v54, s[84:87], 0 offen offset:1024// 000000008104: E05C1400 80954436
	v_mfma_f32_16x16x32_fp8_fp8 v[12:15], a[90:91], a[2:3], v[12:15]// 00000000810C: D3F3000C 1C32055A
	v_mfma_f32_16x16x32_fp8_fp8 v[12:15], a[92:93], a[4:5], v[12:15]// 000000008114: D3F3000C 1C32095C
	ds_read_b128 a[40:43], v2 offset:8832                      // 00000000811C: DBFE2280 28000002
	ds_read_b128 a[44:47], v2 offset:8896                      // 000000008124: DBFE22C0 2C000002
	v_mfma_f32_16x16x32_fp8_fp8 v[12:15], a[94:95], a[6:7], v[12:15]// 00000000812C: D3F3000C 1C320D5E
	v_fma_f32 v88, v8, v4, v88                                 // 000000008134: D1CB0058 05620908
	v_fma_f32 v89, v9, v4, v89                                 // 00000000813C: D1CB0059 05660909
	v_fma_f32 v90, v10, v4, v90                                // 000000008144: D1CB005A 056A090A
	v_fma_f32 v91, v11, v4, v91                                // 00000000814C: D1CB005B 056E090B
	v_mul_f32_dpp v6, v27, v35 row_newbcast:0 row_mask:0xf bank_mask:0xf// 000000008154: 0A0C46FA FF01501B
	v_mfma_f32_16x16x32_fp8_fp8 v[8:11], a[80:81], a[8:9], 0   // 00000000815C: D3F30008 1A021150
	buffer_load_dwordx4 a[72:75], v55, s[84:87], 0 offen       // 000000008164: E05C1000 80954837
	v_mfma_f32_16x16x32_fp8_fp8 v[8:11], a[82:83], a[10:11], v[8:11]// 00000000816C: D3F30008 1C221552
	v_mfma_f32_16x16x32_fp8_fp8 v[8:11], a[84:85], a[12:13], v[8:11]// 000000008174: D3F30008 1C221954
	ds_read_b128 a[48:51], v2 offset:9344                      // 00000000817C: DBFE2480 30000002
	ds_read_b128 a[52:55], v2 offset:9408                      // 000000008184: DBFE24C0 34000002
	v_mfma_f32_16x16x32_fp8_fp8 v[8:11], a[86:87], a[14:15], v[8:11]// 00000000818C: D3F30008 1C221D56
	v_fma_f32 v104, v12, v4, v104                              // 000000008194: D1CB0068 05A2090C
	v_fma_f32 v105, v13, v4, v105                              // 00000000819C: D1CB0069 05A6090D
	v_fma_f32 v106, v14, v4, v106                              // 0000000081A4: D1CB006A 05AA090E
	v_fma_f32 v107, v15, v4, v107                              // 0000000081AC: D1CB006B 05AE090F
	v_mfma_f32_16x16x32_fp8_fp8 v[12:15], a[88:89], a[8:9], 0  // 0000000081B4: D3F3000C 1A021158
	buffer_load_dwordx4 a[76:79], v55, s[84:87], 0 offen offset:1024// 0000000081BC: E05C1400 80954C37
	v_mfma_f32_16x16x32_fp8_fp8 v[12:15], a[90:91], a[10:11], v[12:15]// 0000000081C4: D3F3000C 1C32155A
	v_mfma_f32_16x16x32_fp8_fp8 v[12:15], a[92:93], a[12:13], v[12:15]// 0000000081CC: D3F3000C 1C32195C
	ds_read_b128 a[56:59], v2 offset:9856                      // 0000000081D4: DBFE2680 38000002
	ds_read_b128 a[60:63], v2 offset:9920                      // 0000000081DC: DBFE26C0 3C000002
	v_mfma_f32_16x16x32_fp8_fp8 v[12:15], a[94:95], a[14:15], v[12:15]// 0000000081E4: D3F3000C 1C321D5E
	v_fma_f32 v92, v8, v6, v92                                 // 0000000081EC: D1CB005C 05720D08
	v_fma_f32 v93, v9, v6, v93                                 // 0000000081F4: D1CB005D 05760D09
	v_fma_f32 v94, v10, v6, v94                                // 0000000081FC: D1CB005E 057A0D0A
	v_fma_f32 v95, v11, v6, v95                                // 000000008204: D1CB005F 057E0D0B
	v_mul_f32_dpp v4, v27, v36 row_newbcast:0 row_mask:0xf bank_mask:0xf// 00000000820C: 0A0848FA FF01501B
	v_mfma_f32_16x16x32_fp8_fp8 v[8:11], a[80:81], a[16:17], 0 // 000000008214: D3F30008 1A022150
	v_mfma_f32_16x16x32_fp8_fp8 v[8:11], a[82:83], a[18:19], v[8:11]// 00000000821C: D3F30008 1C222552
	v_mfma_f32_16x16x32_fp8_fp8 v[8:11], a[84:85], a[20:21], v[8:11]// 000000008224: D3F30008 1C222954
	v_mfma_f32_16x16x32_fp8_fp8 v[8:11], a[86:87], a[22:23], v[8:11]// 00000000822C: D3F30008 1C222D56
	v_fma_f32 v108, v12, v6, v108                              // 000000008234: D1CB006C 05B20D0C
	v_fma_f32 v109, v13, v6, v109                              // 00000000823C: D1CB006D 05B60D0D
	v_fma_f32 v110, v14, v6, v110                              // 000000008244: D1CB006E 05BA0D0E
	v_fma_f32 v111, v15, v6, v111                              // 00000000824C: D1CB006F 05BE0D0F
	v_mfma_f32_16x16x32_fp8_fp8 v[12:15], a[88:89], a[16:17], 0// 000000008254: D3F3000C 1A022158
	v_mfma_f32_16x16x32_fp8_fp8 v[12:15], a[90:91], a[18:19], v[12:15]// 00000000825C: D3F3000C 1C32255A
	v_mfma_f32_16x16x32_fp8_fp8 v[12:15], a[92:93], a[20:21], v[12:15]// 000000008264: D3F3000C 1C32295C
	v_mfma_f32_16x16x32_fp8_fp8 v[12:15], a[94:95], a[22:23], v[12:15]// 00000000826C: D3F3000C 1C322D5E
	v_fma_f32 v96, v8, v4, v96                                 // 000000008274: D1CB0060 05820908
	v_fma_f32 v97, v9, v4, v97                                 // 00000000827C: D1CB0061 05860909
	v_fma_f32 v98, v10, v4, v98                                // 000000008284: D1CB0062 058A090A
	v_fma_f32 v99, v11, v4, v99                                // 00000000828C: D1CB0063 058E090B
	v_mul_f32_dpp v6, v27, v37 row_newbcast:0 row_mask:0xf bank_mask:0xf// 000000008294: 0A0C4AFA FF01501B
	v_mfma_f32_16x16x32_fp8_fp8 v[8:11], a[80:81], a[24:25], 0 // 00000000829C: D3F30008 1A023150
	s_add_u32 s60, 0x180, s80                                  // 0000000082A4: 803C50FF 00000180
	s_cmp_lt_u32 s60, s81                                      // 0000000082AC: BF0A513C
	s_cselect_b32 s57, s57, 0                                  // 0000000082B0: 85398039
	s_cselect_b32 s3, s3, 0                                    // 0000000082B4: 85038003
	v_mfma_f32_16x16x32_fp8_fp8 v[8:11], a[82:83], a[26:27], v[8:11]// 0000000082B8: D3F30008 1C223552
	s_add_u32 s60, 0x100, s80                                  // 0000000082C0: 803C50FF 00000100
	s_cmp_lt_u32 s60, s81                                      // 0000000082C8: BF0A513C
	s_cselect_b32 s58, s58, 0                                  // 0000000082CC: 853A803A
	v_mfma_f32_16x16x32_fp8_fp8 v[8:11], a[84:85], a[28:29], v[8:11]// 0000000082D0: D3F30008 1C223954
	s_add_u32 s60, 0x100, s80                                  // 0000000082D8: 803C50FF 00000100
	s_cmp_lt_u32 s60, s81                                      // 0000000082E0: BF0A513C
	s_cselect_b32 s83, s83, 0                                  // 0000000082E4: 85538053
	s_cselect_b32 s4, s4, 0                                    // 0000000082E8: 85048004
	v_mfma_f32_16x16x32_fp8_fp8 v[8:11], a[86:87], a[30:31], v[8:11]// 0000000082EC: D3F30008 1C223D56
	s_add_u32 s24, s58, s24                                    // 0000000082F4: 8018183A
	s_addc_u32 s25, 0, s25                                     // 0000000082F8: 82191980
	v_fma_f32 v112, v12, v4, v112                              // 0000000082FC: D1CB0070 05C2090C
	v_fma_f32 v113, v13, v4, v113                              // 000000008304: D1CB0071 05C6090D
	v_fma_f32 v114, v14, v4, v114                              // 00000000830C: D1CB0072 05CA090E
	v_fma_f32 v115, v15, v4, v115                              // 000000008314: D1CB0073 05CE090F
	v_mfma_f32_16x16x32_fp8_fp8 v[12:15], a[88:89], a[24:25], 0// 00000000831C: D3F3000C 1A023158
	s_add_u32 s20, s57, s20                                    // 000000008324: 80141439
	s_addc_u32 s21, 0, s21                                     // 000000008328: 82151580
	s_add_u32 s28, s3, s28                                     // 00000000832C: 801C1C03
	s_addc_u32 s29, 0, s29                                     // 000000008330: 821D1D80
	v_mfma_f32_16x16x32_fp8_fp8 v[12:15], a[90:91], a[26:27], v[12:15]// 000000008334: D3F3000C 1C32355A
	s_add_u32 s84, s83, s84                                    // 00000000833C: 80545453
	s_addc_u32 s85, 0, s85                                     // 000000008340: 82555580
	v_mfma_f32_16x16x32_fp8_fp8 v[12:15], a[92:93], a[28:29], v[12:15]// 000000008344: D3F3000C 1C32395C
	s_add_u32 s32, s4, s32                                     // 00000000834C: 80202004
	s_addc_u32 s33, 0, s33                                     // 000000008350: 82212180
	v_mfma_f32_16x16x32_fp8_fp8 v[12:15], a[94:95], a[30:31], v[12:15]// 000000008354: D3F3000C 1C323D5E
	v_fma_f32 v100, v8, v6, v100                               // 00000000835C: D1CB0064 05920D08
	v_fma_f32 v101, v9, v6, v101                               // 000000008364: D1CB0065 05960D09
	v_fma_f32 v102, v10, v6, v102                              // 00000000836C: D1CB0066 059A0D0A
	v_fma_f32 v103, v11, v6, v103                              // 000000008374: D1CB0067 059E0D0B
	v_fma_f32 v116, v12, v6, v116                              // 00000000837C: D1CB0074 05D20D0C
	v_fma_f32 v117, v13, v6, v117                              // 000000008384: D1CB0075 05D60D0D
	v_fma_f32 v118, v14, v6, v118                              // 00000000838C: D1CB0076 05DA0D0E
	v_fma_f32 v119, v15, v6, v119                              // 000000008394: D1CB0077 05DE0D0F
	s_addk_i32 s80, 0x80                                       // 00000000839C: B7500080
	s_cmp_lt_i32 s80, s81                                      // 0000000083A0: BF045150
	s_cbranch_scc0 label_1DCB                                  // 0000000083A4: BF84075E
	s_waitcnt vmcnt(17) lgkmcnt(0)                             // 0000000083A8: BF8C4071
	v_mul_f32_dpp v4, v25, v38 row_newbcast:0 row_mask:0xf bank_mask:0xf// 0000000083AC: 0A084CFA FF015019
	v_mfma_f32_16x16x32_fp8_fp8 v[8:11], a[96:97], a[32:33], 0 // 0000000083B4: D3F30008 1A024160
	buffer_load_dword v26, v22, s[32:35], 0 offen              // 0000000083BC: E0501000 80081A16
	buffer_load_dwordx4 a[80:83], v54, s[24:27], 0 offen       // 0000000083C4: E05C1000 80865036
	v_mfma_f32_16x16x32_fp8_fp8 v[8:11], a[98:99], a[34:35], v[8:11]// 0000000083CC: D3F30008 1C224562
	v_mfma_f32_16x16x32_fp8_fp8 v[8:11], a[100:101], a[36:37], v[8:11]// 0000000083D4: D3F30008 1C224964
	v_mfma_f32_16x16x32_fp8_fp8 v[8:11], a[102:103], a[38:39], v[8:11]// 0000000083DC: D3F30008 1C224D66
	v_mfma_f32_16x16x32_fp8_fp8 v[12:15], a[104:105], a[32:33], 0// 0000000083E4: D3F3000C 1A024168
	buffer_load_dwordx4 a[84:87], v54, s[24:27], 0 offen offset:1024// 0000000083EC: E05C1400 80865436
	v_mfma_f32_16x16x32_fp8_fp8 v[12:15], a[106:107], a[34:35], v[12:15]// 0000000083F4: D3F3000C 1C32456A
	v_mfma_f32_16x16x32_fp8_fp8 v[12:15], a[108:109], a[36:37], v[12:15]// 0000000083FC: D3F3000C 1C32496C
	v_mfma_f32_16x16x32_fp8_fp8 v[12:15], a[110:111], a[38:39], v[12:15]// 000000008404: D3F3000C 1C324D6E
	v_fma_f32 v56, v8, v4, v56                                 // 00000000840C: D1CB0038 04E20908
	v_fma_f32 v57, v9, v4, v57                                 // 000000008414: D1CB0039 04E60909
	v_fma_f32 v58, v10, v4, v58                                // 00000000841C: D1CB003A 04EA090A
	v_fma_f32 v59, v11, v4, v59                                // 000000008424: D1CB003B 04EE090B
	v_mul_f32_dpp v6, v25, v39 row_newbcast:0 row_mask:0xf bank_mask:0xf// 00000000842C: 0A0C4EFA FF015019
	v_mfma_f32_16x16x32_fp8_fp8 v[8:11], a[96:97], a[40:41], 0 // 000000008434: D3F30008 1A025160
	buffer_load_dwordx4 a[88:91], v55, s[24:27], 0 offen       // 00000000843C: E05C1000 80865837
	v_mfma_f32_16x16x32_fp8_fp8 v[8:11], a[98:99], a[42:43], v[8:11]// 000000008444: D3F30008 1C225562
	v_mfma_f32_16x16x32_fp8_fp8 v[8:11], a[100:101], a[44:45], v[8:11]// 00000000844C: D3F30008 1C225964
	v_mfma_f32_16x16x32_fp8_fp8 v[8:11], a[102:103], a[46:47], v[8:11]// 000000008454: D3F30008 1C225D66
	v_fma_f32 v72, v12, v4, v72                                // 00000000845C: D1CB0048 0522090C
	v_fma_f32 v73, v13, v4, v73                                // 000000008464: D1CB0049 0526090D
	v_fma_f32 v74, v14, v4, v74                                // 00000000846C: D1CB004A 052A090E
	v_fma_f32 v75, v15, v4, v75                                // 000000008474: D1CB004B 052E090F
	v_mfma_f32_16x16x32_fp8_fp8 v[12:15], a[104:105], a[40:41], 0// 00000000847C: D3F3000C 1A025168
	buffer_load_dwordx4 a[92:95], v55, s[24:27], 0 offen offset:1024// 000000008484: E05C1400 80865C37
	buffer_load_dword v46, s[20:23], 0 offen lds               // 00000000848C: E0511000 8005002E
	s_add_u32 m0, 0x100, s48                                   // 000000008494: 807C30FF 00000100
	v_mfma_f32_16x16x32_fp8_fp8 v[12:15], a[106:107], a[42:43], v[12:15]// 00000000849C: D3F3000C 1C32556A
	v_mfma_f32_16x16x32_fp8_fp8 v[12:15], a[108:109], a[44:45], v[12:15]// 0000000084A4: D3F3000C 1C32596C
	buffer_load_dword v47, s[20:23], 0 offen lds               // 0000000084AC: E0511000 8005002F
	s_add_u32 m0, 0x200, s48                                   // 0000000084B4: 807C30FF 00000200
	v_mfma_f32_16x16x32_fp8_fp8 v[12:15], a[110:111], a[46:47], v[12:15]// 0000000084BC: D3F3000C 1C325D6E
	v_fma_f32 v60, v8, v6, v60                                 // 0000000084C4: D1CB003C 04F20D08
	v_fma_f32 v61, v9, v6, v61                                 // 0000000084CC: D1CB003D 04F60D09
	v_fma_f32 v62, v10, v6, v62                                // 0000000084D4: D1CB003E 04FA0D0A
	v_fma_f32 v63, v11, v6, v63                                // 0000000084DC: D1CB003F 04FE0D0B
	v_mul_f32_dpp v4, v25, v40 row_newbcast:0 row_mask:0xf bank_mask:0xf// 0000000084E4: 0A0850FA FF015019
	v_mfma_f32_16x16x32_fp8_fp8 v[8:11], a[96:97], a[48:49], 0 // 0000000084EC: D3F30008 1A026160
	buffer_load_dword v48, s[20:23], 0 offen lds               // 0000000084F4: E0511000 80050030
	s_add_u32 m0, 0x300, s48                                   // 0000000084FC: 807C30FF 00000300
	v_mfma_f32_16x16x32_fp8_fp8 v[8:11], a[98:99], a[50:51], v[8:11]// 000000008504: D3F30008 1C226562
	v_mfma_f32_16x16x32_fp8_fp8 v[8:11], a[100:101], a[52:53], v[8:11]// 00000000850C: D3F30008 1C226964
	buffer_load_dword v49, s[20:23], 0 offen lds               // 000000008514: E0511000 80050031
	s_add_u32 m0, 0x400, s48                                   // 00000000851C: 807C30FF 00000400
	v_mfma_f32_16x16x32_fp8_fp8 v[8:11], a[102:103], a[54:55], v[8:11]// 000000008524: D3F30008 1C226D66
	v_fma_f32 v76, v12, v6, v76                                // 00000000852C: D1CB004C 05320D0C
	v_fma_f32 v77, v13, v6, v77                                // 000000008534: D1CB004D 05360D0D
	v_fma_f32 v78, v14, v6, v78                                // 00000000853C: D1CB004E 053A0D0E
	v_fma_f32 v79, v15, v6, v79                                // 000000008544: D1CB004F 053E0D0F
	v_mfma_f32_16x16x32_fp8_fp8 v[12:15], a[104:105], a[48:49], 0// 00000000854C: D3F3000C 1A026168
	buffer_load_dword v50, s[20:23], 0 offen lds               // 000000008554: E0511000 80050032
	s_add_u32 m0, 0x500, s48                                   // 00000000855C: 807C30FF 00000500
	v_mfma_f32_16x16x32_fp8_fp8 v[12:15], a[106:107], a[50:51], v[12:15]// 000000008564: D3F3000C 1C32656A
	v_mfma_f32_16x16x32_fp8_fp8 v[12:15], a[108:109], a[52:53], v[12:15]// 00000000856C: D3F3000C 1C32696C
	buffer_load_dword v51, s[20:23], 0 offen lds               // 000000008574: E0511000 80050033
	s_add_u32 m0, 0x600, s48                                   // 00000000857C: 807C30FF 00000600
	v_mfma_f32_16x16x32_fp8_fp8 v[12:15], a[110:111], a[54:55], v[12:15]// 000000008584: D3F3000C 1C326D6E
	v_fma_f32 v64, v8, v4, v64                                 // 00000000858C: D1CB0040 05020908
	v_fma_f32 v65, v9, v4, v65                                 // 000000008594: D1CB0041 05060909
	v_fma_f32 v66, v10, v4, v66                                // 00000000859C: D1CB0042 050A090A
	v_fma_f32 v67, v11, v4, v67                                // 0000000085A4: D1CB0043 050E090B
	v_mul_f32_dpp v6, v25, v41 row_newbcast:0 row_mask:0xf bank_mask:0xf// 0000000085AC: 0A0C52FA FF015019
	v_mfma_f32_16x16x32_fp8_fp8 v[8:11], a[96:97], a[56:57], 0 // 0000000085B4: D3F30008 1A027160
	buffer_load_dword v52, s[20:23], 0 offen lds               // 0000000085BC: E0511000 80050034
	s_add_u32 m0, 0x700, s48                                   // 0000000085C4: 807C30FF 00000700
	v_mfma_f32_16x16x32_fp8_fp8 v[8:11], a[98:99], a[58:59], v[8:11]// 0000000085CC: D3F30008 1C227562
	v_mfma_f32_16x16x32_fp8_fp8 v[8:11], a[100:101], a[60:61], v[8:11]// 0000000085D4: D3F30008 1C227964
	buffer_load_dword v53, s[20:23], 0 offen lds               // 0000000085DC: E0511000 80050035
	s_add_u32 m0, 0, s49                                       // 0000000085E4: 807C3180
	v_mfma_f32_16x16x32_fp8_fp8 v[8:11], a[102:103], a[62:63], v[8:11]// 0000000085E8: D3F30008 1C227D66
	v_fma_f32 v80, v12, v4, v80                                // 0000000085F0: D1CB0050 0542090C
	v_fma_f32 v81, v13, v4, v81                                // 0000000085F8: D1CB0051 0546090D
	v_fma_f32 v82, v14, v4, v82                                // 000000008600: D1CB0052 054A090E
	v_fma_f32 v83, v15, v4, v83                                // 000000008608: D1CB0053 054E090F
	v_mfma_f32_16x16x32_fp8_fp8 v[12:15], a[104:105], a[56:57], 0// 000000008610: D3F3000C 1A027168
	buffer_load_dword v34, v30, s[28:31], 0 offen              // 000000008618: E0501000 8007221E
	v_mfma_f32_16x16x32_fp8_fp8 v[12:15], a[106:107], a[58:59], v[12:15]// 000000008620: D3F3000C 1C32756A
	v_mfma_f32_16x16x32_fp8_fp8 v[12:15], a[108:109], a[60:61], v[12:15]// 000000008628: D3F3000C 1C32796C
	buffer_load_dword v35, v31, s[28:31], 0 offen              // 000000008630: E0501000 8007231F
	v_mfma_f32_16x16x32_fp8_fp8 v[12:15], a[110:111], a[62:63], v[12:15]// 000000008638: D3F3000C 1C327D6E
	v_fma_f32 v68, v8, v6, v68                                 // 000000008640: D1CB0044 05120D08
	v_fma_f32 v69, v9, v6, v69                                 // 000000008648: D1CB0045 05160D09
	v_fma_f32 v70, v10, v6, v70                                // 000000008650: D1CB0046 051A0D0A
	v_fma_f32 v71, v11, v6, v71                                // 000000008658: D1CB0047 051E0D0B
	v_fma_f32 v84, v12, v6, v84                                // 000000008660: D1CB0054 05520D0C
	v_fma_f32 v85, v13, v6, v85                                // 000000008668: D1CB0055 05560D0D
	v_fma_f32 v86, v14, v6, v86                                // 000000008670: D1CB0056 055A0D0E
	v_fma_f32 v87, v15, v6, v87                                // 000000008678: D1CB0057 055E0D0F
	buffer_load_dword v36, v32, s[28:31], 0 offen              // 000000008680: E0501000 80072420
	buffer_load_dword v37, v33, s[28:31], 0 offen              // 000000008688: E0501000 80072521
	s_waitcnt vmcnt(17)                                        // 000000008690: BF8C4F71
	s_barrier                                                  // 000000008694: BF8A0000
	v_mul_f32_dpp v4, v28, v38 row_newbcast:0 row_mask:0xf bank_mask:0xf// 000000008698: 0A084CFA FF01501C
	v_mfma_f32_16x16x32_fp8_fp8 v[8:11], a[64:65], a[32:33], 0 // 0000000086A0: D3F30008 1A024140
	buffer_load_dword v29, v23, s[32:35], 0 offen              // 0000000086A8: E0501000 80081D17
	buffer_load_dwordx4 a[96:99], v54, s[84:87], 0 offen       // 0000000086B0: E05C1000 80956036
	v_mfma_f32_16x16x32_fp8_fp8 v[8:11], a[66:67], a[34:35], v[8:11]// 0000000086B8: D3F30008 1C224542
	v_mfma_f32_16x16x32_fp8_fp8 v[8:11], a[68:69], a[36:37], v[8:11]// 0000000086C0: D3F30008 1C224944
	ds_read_b128 a[0:3], v2 offset:16640                       // 0000000086C8: DBFE4100 00000002
	ds_read_b128 a[4:7], v2 offset:16704                       // 0000000086D0: DBFE4140 04000002
	v_mfma_f32_16x16x32_fp8_fp8 v[8:11], a[70:71], a[38:39], v[8:11]// 0000000086D8: D3F30008 1C224D46
	v_mfma_f32_16x16x32_fp8_fp8 v[12:15], a[72:73], a[32:33], 0// 0000000086E0: D3F3000C 1A024148
	buffer_load_dwordx4 a[100:103], v54, s[84:87], 0 offen offset:1024// 0000000086E8: E05C1400 80956436
	v_mfma_f32_16x16x32_fp8_fp8 v[12:15], a[74:75], a[34:35], v[12:15]// 0000000086F0: D3F3000C 1C32454A
	v_mfma_f32_16x16x32_fp8_fp8 v[12:15], a[76:77], a[36:37], v[12:15]// 0000000086F8: D3F3000C 1C32494C
	ds_read_b128 a[8:11], v2 offset:17152                      // 000000008700: DBFE4300 08000002
	ds_read_b128 a[12:15], v2 offset:17216                     // 000000008708: DBFE4340 0C000002
	v_mfma_f32_16x16x32_fp8_fp8 v[12:15], a[78:79], a[38:39], v[12:15]// 000000008710: D3F3000C 1C324D4E
	v_fma_f32 v88, v8, v4, v88                                 // 000000008718: D1CB0058 05620908
	v_fma_f32 v89, v9, v4, v89                                 // 000000008720: D1CB0059 05660909
	v_fma_f32 v90, v10, v4, v90                                // 000000008728: D1CB005A 056A090A
	v_fma_f32 v91, v11, v4, v91                                // 000000008730: D1CB005B 056E090B
	v_mul_f32_dpp v6, v28, v39 row_newbcast:0 row_mask:0xf bank_mask:0xf// 000000008738: 0A0C4EFA FF01501C
	v_mfma_f32_16x16x32_fp8_fp8 v[8:11], a[64:65], a[40:41], 0 // 000000008740: D3F30008 1A025140
	buffer_load_dwordx4 a[104:107], v55, s[84:87], 0 offen     // 000000008748: E05C1000 80956837
	v_mfma_f32_16x16x32_fp8_fp8 v[8:11], a[66:67], a[42:43], v[8:11]// 000000008750: D3F30008 1C225542
	v_mfma_f32_16x16x32_fp8_fp8 v[8:11], a[68:69], a[44:45], v[8:11]// 000000008758: D3F30008 1C225944
	ds_read_b128 a[16:19], v2 offset:17664                     // 000000008760: DBFE4500 10000002
	ds_read_b128 a[20:23], v2 offset:17728                     // 000000008768: DBFE4540 14000002
	v_mfma_f32_16x16x32_fp8_fp8 v[8:11], a[70:71], a[46:47], v[8:11]// 000000008770: D3F30008 1C225D46
	v_fma_f32 v104, v12, v4, v104                              // 000000008778: D1CB0068 05A2090C
	v_fma_f32 v105, v13, v4, v105                              // 000000008780: D1CB0069 05A6090D
	v_fma_f32 v106, v14, v4, v106                              // 000000008788: D1CB006A 05AA090E
	v_fma_f32 v107, v15, v4, v107                              // 000000008790: D1CB006B 05AE090F
	v_mfma_f32_16x16x32_fp8_fp8 v[12:15], a[72:73], a[40:41], 0// 000000008798: D3F3000C 1A025148
	buffer_load_dwordx4 a[108:111], v55, s[84:87], 0 offen offset:1024// 0000000087A0: E05C1400 80956C37
	v_mfma_f32_16x16x32_fp8_fp8 v[12:15], a[74:75], a[42:43], v[12:15]// 0000000087A8: D3F3000C 1C32554A
	v_mfma_f32_16x16x32_fp8_fp8 v[12:15], a[76:77], a[44:45], v[12:15]// 0000000087B0: D3F3000C 1C32594C
	ds_read_b128 a[24:27], v2 offset:18176                     // 0000000087B8: DBFE4700 18000002
	ds_read_b128 a[28:31], v2 offset:18240                     // 0000000087C0: DBFE4740 1C000002
	v_mfma_f32_16x16x32_fp8_fp8 v[12:15], a[78:79], a[46:47], v[12:15]// 0000000087C8: D3F3000C 1C325D4E
	v_fma_f32 v92, v8, v6, v92                                 // 0000000087D0: D1CB005C 05720D08
	v_fma_f32 v93, v9, v6, v93                                 // 0000000087D8: D1CB005D 05760D09
	v_fma_f32 v94, v10, v6, v94                                // 0000000087E0: D1CB005E 057A0D0A
	v_fma_f32 v95, v11, v6, v95                                // 0000000087E8: D1CB005F 057E0D0B
	v_mul_f32_dpp v4, v28, v40 row_newbcast:0 row_mask:0xf bank_mask:0xf// 0000000087F0: 0A0850FA FF01501C
	v_mfma_f32_16x16x32_fp8_fp8 v[8:11], a[64:65], a[48:49], 0 // 0000000087F8: D3F30008 1A026140
	v_mfma_f32_16x16x32_fp8_fp8 v[8:11], a[66:67], a[50:51], v[8:11]// 000000008800: D3F30008 1C226542
	v_mfma_f32_16x16x32_fp8_fp8 v[8:11], a[68:69], a[52:53], v[8:11]// 000000008808: D3F30008 1C226944
	v_mfma_f32_16x16x32_fp8_fp8 v[8:11], a[70:71], a[54:55], v[8:11]// 000000008810: D3F30008 1C226D46
	v_fma_f32 v108, v12, v6, v108                              // 000000008818: D1CB006C 05B20D0C
	v_fma_f32 v109, v13, v6, v109                              // 000000008820: D1CB006D 05B60D0D
	v_fma_f32 v110, v14, v6, v110                              // 000000008828: D1CB006E 05BA0D0E
	v_fma_f32 v111, v15, v6, v111                              // 000000008830: D1CB006F 05BE0D0F
	v_mfma_f32_16x16x32_fp8_fp8 v[12:15], a[72:73], a[48:49], 0// 000000008838: D3F3000C 1A026148
	v_mfma_f32_16x16x32_fp8_fp8 v[12:15], a[74:75], a[50:51], v[12:15]// 000000008840: D3F3000C 1C32654A
	v_mfma_f32_16x16x32_fp8_fp8 v[12:15], a[76:77], a[52:53], v[12:15]// 000000008848: D3F3000C 1C32694C
	v_mfma_f32_16x16x32_fp8_fp8 v[12:15], a[78:79], a[54:55], v[12:15]// 000000008850: D3F3000C 1C326D4E
	v_fma_f32 v96, v8, v4, v96                                 // 000000008858: D1CB0060 05820908
	v_fma_f32 v97, v9, v4, v97                                 // 000000008860: D1CB0061 05860909
	v_fma_f32 v98, v10, v4, v98                                // 000000008868: D1CB0062 058A090A
	v_fma_f32 v99, v11, v4, v99                                // 000000008870: D1CB0063 058E090B
	v_mul_f32_dpp v6, v28, v41 row_newbcast:0 row_mask:0xf bank_mask:0xf// 000000008878: 0A0C52FA FF01501C
	v_mfma_f32_16x16x32_fp8_fp8 v[8:11], a[64:65], a[56:57], 0 // 000000008880: D3F30008 1A027140
	s_add_u32 s60, 0x180, s80                                  // 000000008888: 803C50FF 00000180
	s_cmp_lt_u32 s60, s81                                      // 000000008890: BF0A513C
	s_cselect_b32 s57, s57, 0                                  // 000000008894: 85398039
	s_cselect_b32 s3, s3, 0                                    // 000000008898: 85038003
	v_mfma_f32_16x16x32_fp8_fp8 v[8:11], a[66:67], a[58:59], v[8:11]// 00000000889C: D3F30008 1C227542
	s_add_u32 s60, 0x100, s80                                  // 0000000088A4: 803C50FF 00000100
	s_cmp_lt_u32 s60, s81                                      // 0000000088AC: BF0A513C
	s_cselect_b32 s58, s58, 0                                  // 0000000088B0: 853A803A
	v_mfma_f32_16x16x32_fp8_fp8 v[8:11], a[68:69], a[60:61], v[8:11]// 0000000088B4: D3F30008 1C227944
	s_add_u32 s60, 0x100, s80                                  // 0000000088BC: 803C50FF 00000100
	s_cmp_lt_u32 s60, s81                                      // 0000000088C4: BF0A513C
	s_cselect_b32 s83, s83, 0                                  // 0000000088C8: 85538053
	s_cselect_b32 s4, s4, 0                                    // 0000000088CC: 85048004
	v_mfma_f32_16x16x32_fp8_fp8 v[8:11], a[70:71], a[62:63], v[8:11]// 0000000088D0: D3F30008 1C227D46
	s_add_u32 s24, s58, s24                                    // 0000000088D8: 8018183A
	s_addc_u32 s25, 0, s25                                     // 0000000088DC: 82191980
	v_fma_f32 v112, v12, v4, v112                              // 0000000088E0: D1CB0070 05C2090C
	v_fma_f32 v113, v13, v4, v113                              // 0000000088E8: D1CB0071 05C6090D
	v_fma_f32 v114, v14, v4, v114                              // 0000000088F0: D1CB0072 05CA090E
	v_fma_f32 v115, v15, v4, v115                              // 0000000088F8: D1CB0073 05CE090F
	v_mfma_f32_16x16x32_fp8_fp8 v[12:15], a[72:73], a[56:57], 0// 000000008900: D3F3000C 1A027148
	s_add_u32 s20, s57, s20                                    // 000000008908: 80141439
	s_addc_u32 s21, 0, s21                                     // 00000000890C: 82151580
	s_add_u32 s28, s3, s28                                     // 000000008910: 801C1C03
	s_addc_u32 s29, 0, s29                                     // 000000008914: 821D1D80
	v_mfma_f32_16x16x32_fp8_fp8 v[12:15], a[74:75], a[58:59], v[12:15]// 000000008918: D3F3000C 1C32754A
	s_add_u32 s84, s83, s84                                    // 000000008920: 80545453
	s_addc_u32 s85, 0, s85                                     // 000000008924: 82555580
	v_mfma_f32_16x16x32_fp8_fp8 v[12:15], a[76:77], a[60:61], v[12:15]// 000000008928: D3F3000C 1C32794C
	s_add_u32 s32, s4, s32                                     // 000000008930: 80202004
	s_addc_u32 s33, 0, s33                                     // 000000008934: 82212180
	v_mfma_f32_16x16x32_fp8_fp8 v[12:15], a[78:79], a[62:63], v[12:15]// 000000008938: D3F3000C 1C327D4E
	v_fma_f32 v100, v8, v6, v100                               // 000000008940: D1CB0064 05920D08
	v_fma_f32 v101, v9, v6, v101                               // 000000008948: D1CB0065 05960D09
	v_fma_f32 v102, v10, v6, v102                              // 000000008950: D1CB0066 059A0D0A
	v_fma_f32 v103, v11, v6, v103                              // 000000008958: D1CB0067 059E0D0B
	v_fma_f32 v116, v12, v6, v116                              // 000000008960: D1CB0074 05D20D0C
	v_fma_f32 v117, v13, v6, v117                              // 000000008968: D1CB0075 05D60D0D
	v_fma_f32 v118, v14, v6, v118                              // 000000008970: D1CB0076 05DA0D0E
	v_fma_f32 v119, v15, v6, v119                              // 000000008978: D1CB0077 05DE0D0F
	s_addk_i32 s80, 0x80                                       // 000000008980: B7500080
	s_cmp_lt_i32 s80, s81                                      // 000000008984: BF045150
	s_cbranch_scc0 label_1DCB                                  // 000000008988: BF8405E5
	s_waitcnt vmcnt(17) lgkmcnt(0)                             // 00000000898C: BF8C4071
	v_mul_f32_dpp v4, v26, v42 row_newbcast:0 row_mask:0xf bank_mask:0xf// 000000008990: 0A0854FA FF01501A
	v_mfma_f32_16x16x32_fp8_fp8 v[8:11], a[80:81], a[0:1], 0   // 000000008998: D3F30008 1A020150
	buffer_load_dword v24, v22, s[32:35], 0 offen              // 0000000089A0: E0501000 80081816
	buffer_load_dwordx4 a[64:67], v54, s[24:27], 0 offen       // 0000000089A8: E05C1000 80864036
	v_mfma_f32_16x16x32_fp8_fp8 v[8:11], a[82:83], a[2:3], v[8:11]// 0000000089B0: D3F30008 1C220552
	v_mfma_f32_16x16x32_fp8_fp8 v[8:11], a[84:85], a[4:5], v[8:11]// 0000000089B8: D3F30008 1C220954
	v_mfma_f32_16x16x32_fp8_fp8 v[8:11], a[86:87], a[6:7], v[8:11]// 0000000089C0: D3F30008 1C220D56
	v_mfma_f32_16x16x32_fp8_fp8 v[12:15], a[88:89], a[0:1], 0  // 0000000089C8: D3F3000C 1A020158
	buffer_load_dwordx4 a[68:71], v54, s[24:27], 0 offen offset:1024// 0000000089D0: E05C1400 80864436
	v_mfma_f32_16x16x32_fp8_fp8 v[12:15], a[90:91], a[2:3], v[12:15]// 0000000089D8: D3F3000C 1C32055A
	v_mfma_f32_16x16x32_fp8_fp8 v[12:15], a[92:93], a[4:5], v[12:15]// 0000000089E0: D3F3000C 1C32095C
	v_mfma_f32_16x16x32_fp8_fp8 v[12:15], a[94:95], a[6:7], v[12:15]// 0000000089E8: D3F3000C 1C320D5E
	v_fma_f32 v56, v8, v4, v56                                 // 0000000089F0: D1CB0038 04E20908
	v_fma_f32 v57, v9, v4, v57                                 // 0000000089F8: D1CB0039 04E60909
	v_fma_f32 v58, v10, v4, v58                                // 000000008A00: D1CB003A 04EA090A
	v_fma_f32 v59, v11, v4, v59                                // 000000008A08: D1CB003B 04EE090B
	v_mul_f32_dpp v6, v26, v43 row_newbcast:0 row_mask:0xf bank_mask:0xf// 000000008A10: 0A0C56FA FF01501A
	v_mfma_f32_16x16x32_fp8_fp8 v[8:11], a[80:81], a[8:9], 0   // 000000008A18: D3F30008 1A021150
	buffer_load_dwordx4 a[72:75], v55, s[24:27], 0 offen       // 000000008A20: E05C1000 80864837
	v_mfma_f32_16x16x32_fp8_fp8 v[8:11], a[82:83], a[10:11], v[8:11]// 000000008A28: D3F30008 1C221552
	v_mfma_f32_16x16x32_fp8_fp8 v[8:11], a[84:85], a[12:13], v[8:11]// 000000008A30: D3F30008 1C221954
	v_mfma_f32_16x16x32_fp8_fp8 v[8:11], a[86:87], a[14:15], v[8:11]// 000000008A38: D3F30008 1C221D56
	v_fma_f32 v72, v12, v4, v72                                // 000000008A40: D1CB0048 0522090C
	v_fma_f32 v73, v13, v4, v73                                // 000000008A48: D1CB0049 0526090D
	v_fma_f32 v74, v14, v4, v74                                // 000000008A50: D1CB004A 052A090E
	v_fma_f32 v75, v15, v4, v75                                // 000000008A58: D1CB004B 052E090F
	v_mfma_f32_16x16x32_fp8_fp8 v[12:15], a[88:89], a[8:9], 0  // 000000008A60: D3F3000C 1A021158
	buffer_load_dwordx4 a[76:79], v55, s[24:27], 0 offen offset:1024// 000000008A68: E05C1400 80864C37
	buffer_load_dword v46, s[20:23], 0 offen lds               // 000000008A70: E0511000 8005002E
	s_add_u32 m0, 0x100, s49                                   // 000000008A78: 807C31FF 00000100
	v_mfma_f32_16x16x32_fp8_fp8 v[12:15], a[90:91], a[10:11], v[12:15]// 000000008A80: D3F3000C 1C32155A
	v_mfma_f32_16x16x32_fp8_fp8 v[12:15], a[92:93], a[12:13], v[12:15]// 000000008A88: D3F3000C 1C32195C
	buffer_load_dword v47, s[20:23], 0 offen lds               // 000000008A90: E0511000 8005002F
	s_add_u32 m0, 0x200, s49                                   // 000000008A98: 807C31FF 00000200
	v_mfma_f32_16x16x32_fp8_fp8 v[12:15], a[94:95], a[14:15], v[12:15]// 000000008AA0: D3F3000C 1C321D5E
	v_fma_f32 v60, v8, v6, v60                                 // 000000008AA8: D1CB003C 04F20D08
	v_fma_f32 v61, v9, v6, v61                                 // 000000008AB0: D1CB003D 04F60D09
	v_fma_f32 v62, v10, v6, v62                                // 000000008AB8: D1CB003E 04FA0D0A
	v_fma_f32 v63, v11, v6, v63                                // 000000008AC0: D1CB003F 04FE0D0B
	v_mul_f32_dpp v4, v26, v44 row_newbcast:0 row_mask:0xf bank_mask:0xf// 000000008AC8: 0A0858FA FF01501A
	v_mfma_f32_16x16x32_fp8_fp8 v[8:11], a[80:81], a[16:17], 0 // 000000008AD0: D3F30008 1A022150
	buffer_load_dword v48, s[20:23], 0 offen lds               // 000000008AD8: E0511000 80050030
	s_add_u32 m0, 0x300, s49                                   // 000000008AE0: 807C31FF 00000300
	v_mfma_f32_16x16x32_fp8_fp8 v[8:11], a[82:83], a[18:19], v[8:11]// 000000008AE8: D3F30008 1C222552
	v_mfma_f32_16x16x32_fp8_fp8 v[8:11], a[84:85], a[20:21], v[8:11]// 000000008AF0: D3F30008 1C222954
	buffer_load_dword v49, s[20:23], 0 offen lds               // 000000008AF8: E0511000 80050031
	s_add_u32 m0, 0x400, s49                                   // 000000008B00: 807C31FF 00000400
	v_mfma_f32_16x16x32_fp8_fp8 v[8:11], a[86:87], a[22:23], v[8:11]// 000000008B08: D3F30008 1C222D56
	v_fma_f32 v76, v12, v6, v76                                // 000000008B10: D1CB004C 05320D0C
	v_fma_f32 v77, v13, v6, v77                                // 000000008B18: D1CB004D 05360D0D
	v_fma_f32 v78, v14, v6, v78                                // 000000008B20: D1CB004E 053A0D0E
	v_fma_f32 v79, v15, v6, v79                                // 000000008B28: D1CB004F 053E0D0F
	v_mfma_f32_16x16x32_fp8_fp8 v[12:15], a[88:89], a[16:17], 0// 000000008B30: D3F3000C 1A022158
	buffer_load_dword v50, s[20:23], 0 offen lds               // 000000008B38: E0511000 80050032
	s_add_u32 m0, 0x500, s49                                   // 000000008B40: 807C31FF 00000500
	v_mfma_f32_16x16x32_fp8_fp8 v[12:15], a[90:91], a[18:19], v[12:15]// 000000008B48: D3F3000C 1C32255A
	v_mfma_f32_16x16x32_fp8_fp8 v[12:15], a[92:93], a[20:21], v[12:15]// 000000008B50: D3F3000C 1C32295C
	buffer_load_dword v51, s[20:23], 0 offen lds               // 000000008B58: E0511000 80050033
	s_add_u32 m0, 0x600, s49                                   // 000000008B60: 807C31FF 00000600
	v_mfma_f32_16x16x32_fp8_fp8 v[12:15], a[94:95], a[22:23], v[12:15]// 000000008B68: D3F3000C 1C322D5E
	v_fma_f32 v64, v8, v4, v64                                 // 000000008B70: D1CB0040 05020908
	v_fma_f32 v65, v9, v4, v65                                 // 000000008B78: D1CB0041 05060909
	v_fma_f32 v66, v10, v4, v66                                // 000000008B80: D1CB0042 050A090A
	v_fma_f32 v67, v11, v4, v67                                // 000000008B88: D1CB0043 050E090B
	v_mul_f32_dpp v6, v26, v45 row_newbcast:0 row_mask:0xf bank_mask:0xf// 000000008B90: 0A0C5AFA FF01501A
	v_mfma_f32_16x16x32_fp8_fp8 v[8:11], a[80:81], a[24:25], 0 // 000000008B98: D3F30008 1A023150
	buffer_load_dword v52, s[20:23], 0 offen lds               // 000000008BA0: E0511000 80050034
	s_add_u32 m0, 0x700, s49                                   // 000000008BA8: 807C31FF 00000700
	v_mfma_f32_16x16x32_fp8_fp8 v[8:11], a[82:83], a[26:27], v[8:11]// 000000008BB0: D3F30008 1C223552
	v_mfma_f32_16x16x32_fp8_fp8 v[8:11], a[84:85], a[28:29], v[8:11]// 000000008BB8: D3F30008 1C223954
	buffer_load_dword v53, s[20:23], 0 offen lds               // 000000008BC0: E0511000 80050035
	s_add_u32 m0, 0, s50                                       // 000000008BC8: 807C3280
	v_mfma_f32_16x16x32_fp8_fp8 v[8:11], a[86:87], a[30:31], v[8:11]// 000000008BCC: D3F30008 1C223D56
	v_fma_f32 v80, v12, v4, v80                                // 000000008BD4: D1CB0050 0542090C
	v_fma_f32 v81, v13, v4, v81                                // 000000008BDC: D1CB0051 0546090D
	v_fma_f32 v82, v14, v4, v82                                // 000000008BE4: D1CB0052 054A090E
	v_fma_f32 v83, v15, v4, v83                                // 000000008BEC: D1CB0053 054E090F
	v_mfma_f32_16x16x32_fp8_fp8 v[12:15], a[88:89], a[24:25], 0// 000000008BF4: D3F3000C 1A023158
	buffer_load_dword v38, v30, s[28:31], 0 offen              // 000000008BFC: E0501000 8007261E
	v_mfma_f32_16x16x32_fp8_fp8 v[12:15], a[90:91], a[26:27], v[12:15]// 000000008C04: D3F3000C 1C32355A
	v_mfma_f32_16x16x32_fp8_fp8 v[12:15], a[92:93], a[28:29], v[12:15]// 000000008C0C: D3F3000C 1C32395C
	buffer_load_dword v39, v31, s[28:31], 0 offen              // 000000008C14: E0501000 8007271F
	v_mfma_f32_16x16x32_fp8_fp8 v[12:15], a[94:95], a[30:31], v[12:15]// 000000008C1C: D3F3000C 1C323D5E
	v_fma_f32 v68, v8, v6, v68                                 // 000000008C24: D1CB0044 05120D08
	v_fma_f32 v69, v9, v6, v69                                 // 000000008C2C: D1CB0045 05160D09
	v_fma_f32 v70, v10, v6, v70                                // 000000008C34: D1CB0046 051A0D0A
	v_fma_f32 v71, v11, v6, v71                                // 000000008C3C: D1CB0047 051E0D0B
	v_fma_f32 v84, v12, v6, v84                                // 000000008C44: D1CB0054 05520D0C
	v_fma_f32 v85, v13, v6, v85                                // 000000008C4C: D1CB0055 05560D0D
	v_fma_f32 v86, v14, v6, v86                                // 000000008C54: D1CB0056 055A0D0E
	v_fma_f32 v87, v15, v6, v87                                // 000000008C5C: D1CB0057 055E0D0F
	buffer_load_dword v40, v32, s[28:31], 0 offen              // 000000008C64: E0501000 80072820
	buffer_load_dword v41, v33, s[28:31], 0 offen              // 000000008C6C: E0501000 80072921
	s_waitcnt vmcnt(17)                                        // 000000008C74: BF8C4F71
	s_barrier                                                  // 000000008C78: BF8A0000
	v_mul_f32_dpp v4, v29, v42 row_newbcast:0 row_mask:0xf bank_mask:0xf// 000000008C7C: 0A0854FA FF01501D
	v_mfma_f32_16x16x32_fp8_fp8 v[8:11], a[96:97], a[0:1], 0   // 000000008C84: D3F30008 1A020160
	buffer_load_dword v27, v23, s[32:35], 0 offen              // 000000008C8C: E0501000 80081B17
	buffer_load_dwordx4 a[80:83], v54, s[84:87], 0 offen       // 000000008C94: E05C1000 80955036
	v_mfma_f32_16x16x32_fp8_fp8 v[8:11], a[98:99], a[2:3], v[8:11]// 000000008C9C: D3F30008 1C220562
	v_mfma_f32_16x16x32_fp8_fp8 v[8:11], a[100:101], a[4:5], v[8:11]// 000000008CA4: D3F30008 1C220964
	ds_read_b128 a[32:35], v2                                  // 000000008CAC: DBFE0000 20000002
	ds_read_b128 a[36:39], v2 offset:64                        // 000000008CB4: DBFE0040 24000002
	v_mfma_f32_16x16x32_fp8_fp8 v[8:11], a[102:103], a[6:7], v[8:11]// 000000008CBC: D3F30008 1C220D66
	v_mfma_f32_16x16x32_fp8_fp8 v[12:15], a[104:105], a[0:1], 0// 000000008CC4: D3F3000C 1A020168
	buffer_load_dwordx4 a[84:87], v54, s[84:87], 0 offen offset:1024// 000000008CCC: E05C1400 80955436
	v_mfma_f32_16x16x32_fp8_fp8 v[12:15], a[106:107], a[2:3], v[12:15]// 000000008CD4: D3F3000C 1C32056A
	v_mfma_f32_16x16x32_fp8_fp8 v[12:15], a[108:109], a[4:5], v[12:15]// 000000008CDC: D3F3000C 1C32096C
	ds_read_b128 a[40:43], v2 offset:512                       // 000000008CE4: DBFE0200 28000002
	ds_read_b128 a[44:47], v2 offset:576                       // 000000008CEC: DBFE0240 2C000002
	v_mfma_f32_16x16x32_fp8_fp8 v[12:15], a[110:111], a[6:7], v[12:15]// 000000008CF4: D3F3000C 1C320D6E
	v_fma_f32 v88, v8, v4, v88                                 // 000000008CFC: D1CB0058 05620908
	v_fma_f32 v89, v9, v4, v89                                 // 000000008D04: D1CB0059 05660909
	v_fma_f32 v90, v10, v4, v90                                // 000000008D0C: D1CB005A 056A090A
	v_fma_f32 v91, v11, v4, v91                                // 000000008D14: D1CB005B 056E090B
	v_mul_f32_dpp v6, v29, v43 row_newbcast:0 row_mask:0xf bank_mask:0xf// 000000008D1C: 0A0C56FA FF01501D
	v_mfma_f32_16x16x32_fp8_fp8 v[8:11], a[96:97], a[8:9], 0   // 000000008D24: D3F30008 1A021160
	buffer_load_dwordx4 a[88:91], v55, s[84:87], 0 offen       // 000000008D2C: E05C1000 80955837
	v_mfma_f32_16x16x32_fp8_fp8 v[8:11], a[98:99], a[10:11], v[8:11]// 000000008D34: D3F30008 1C221562
	v_mfma_f32_16x16x32_fp8_fp8 v[8:11], a[100:101], a[12:13], v[8:11]// 000000008D3C: D3F30008 1C221964
	ds_read_b128 a[48:51], v2 offset:1024                      // 000000008D44: DBFE0400 30000002
	ds_read_b128 a[52:55], v2 offset:1088                      // 000000008D4C: DBFE0440 34000002
	v_mfma_f32_16x16x32_fp8_fp8 v[8:11], a[102:103], a[14:15], v[8:11]// 000000008D54: D3F30008 1C221D66
	v_fma_f32 v104, v12, v4, v104                              // 000000008D5C: D1CB0068 05A2090C
	v_fma_f32 v105, v13, v4, v105                              // 000000008D64: D1CB0069 05A6090D
	v_fma_f32 v106, v14, v4, v106                              // 000000008D6C: D1CB006A 05AA090E
	v_fma_f32 v107, v15, v4, v107                              // 000000008D74: D1CB006B 05AE090F
	v_mfma_f32_16x16x32_fp8_fp8 v[12:15], a[104:105], a[8:9], 0// 000000008D7C: D3F3000C 1A021168
	buffer_load_dwordx4 a[92:95], v55, s[84:87], 0 offen offset:1024// 000000008D84: E05C1400 80955C37
	v_mfma_f32_16x16x32_fp8_fp8 v[12:15], a[106:107], a[10:11], v[12:15]// 000000008D8C: D3F3000C 1C32156A
	v_mfma_f32_16x16x32_fp8_fp8 v[12:15], a[108:109], a[12:13], v[12:15]// 000000008D94: D3F3000C 1C32196C
	ds_read_b128 a[56:59], v2 offset:1536                      // 000000008D9C: DBFE0600 38000002
	ds_read_b128 a[60:63], v2 offset:1600                      // 000000008DA4: DBFE0640 3C000002
	v_mfma_f32_16x16x32_fp8_fp8 v[12:15], a[110:111], a[14:15], v[12:15]// 000000008DAC: D3F3000C 1C321D6E
	v_fma_f32 v92, v8, v6, v92                                 // 000000008DB4: D1CB005C 05720D08
	v_fma_f32 v93, v9, v6, v93                                 // 000000008DBC: D1CB005D 05760D09
	v_fma_f32 v94, v10, v6, v94                                // 000000008DC4: D1CB005E 057A0D0A
	v_fma_f32 v95, v11, v6, v95                                // 000000008DCC: D1CB005F 057E0D0B
	v_mul_f32_dpp v4, v29, v44 row_newbcast:0 row_mask:0xf bank_mask:0xf// 000000008DD4: 0A0858FA FF01501D
	v_mfma_f32_16x16x32_fp8_fp8 v[8:11], a[96:97], a[16:17], 0 // 000000008DDC: D3F30008 1A022160
	v_mfma_f32_16x16x32_fp8_fp8 v[8:11], a[98:99], a[18:19], v[8:11]// 000000008DE4: D3F30008 1C222562
	v_mfma_f32_16x16x32_fp8_fp8 v[8:11], a[100:101], a[20:21], v[8:11]// 000000008DEC: D3F30008 1C222964
	v_mfma_f32_16x16x32_fp8_fp8 v[8:11], a[102:103], a[22:23], v[8:11]// 000000008DF4: D3F30008 1C222D66
	v_fma_f32 v108, v12, v6, v108                              // 000000008DFC: D1CB006C 05B20D0C
	v_fma_f32 v109, v13, v6, v109                              // 000000008E04: D1CB006D 05B60D0D
	v_fma_f32 v110, v14, v6, v110                              // 000000008E0C: D1CB006E 05BA0D0E
	v_fma_f32 v111, v15, v6, v111                              // 000000008E14: D1CB006F 05BE0D0F
	v_mfma_f32_16x16x32_fp8_fp8 v[12:15], a[104:105], a[16:17], 0// 000000008E1C: D3F3000C 1A022168
	v_mfma_f32_16x16x32_fp8_fp8 v[12:15], a[106:107], a[18:19], v[12:15]// 000000008E24: D3F3000C 1C32256A
	v_mfma_f32_16x16x32_fp8_fp8 v[12:15], a[108:109], a[20:21], v[12:15]// 000000008E2C: D3F3000C 1C32296C
	v_mfma_f32_16x16x32_fp8_fp8 v[12:15], a[110:111], a[22:23], v[12:15]// 000000008E34: D3F3000C 1C322D6E
	v_fma_f32 v96, v8, v4, v96                                 // 000000008E3C: D1CB0060 05820908
	v_fma_f32 v97, v9, v4, v97                                 // 000000008E44: D1CB0061 05860909
	v_fma_f32 v98, v10, v4, v98                                // 000000008E4C: D1CB0062 058A090A
	v_fma_f32 v99, v11, v4, v99                                // 000000008E54: D1CB0063 058E090B
	v_mul_f32_dpp v6, v29, v45 row_newbcast:0 row_mask:0xf bank_mask:0xf// 000000008E5C: 0A0C5AFA FF01501D
	v_mfma_f32_16x16x32_fp8_fp8 v[8:11], a[96:97], a[24:25], 0 // 000000008E64: D3F30008 1A023160
	s_add_u32 s60, 0x180, s80                                  // 000000008E6C: 803C50FF 00000180
	s_cmp_lt_u32 s60, s81                                      // 000000008E74: BF0A513C
	s_cselect_b32 s57, s57, 0                                  // 000000008E78: 85398039
	s_cselect_b32 s3, s3, 0                                    // 000000008E7C: 85038003
	v_mfma_f32_16x16x32_fp8_fp8 v[8:11], a[98:99], a[26:27], v[8:11]// 000000008E80: D3F30008 1C223562
	s_add_u32 s60, 0x100, s80                                  // 000000008E88: 803C50FF 00000100
	s_cmp_lt_u32 s60, s81                                      // 000000008E90: BF0A513C
	s_cselect_b32 s58, s58, 0                                  // 000000008E94: 853A803A
	v_mfma_f32_16x16x32_fp8_fp8 v[8:11], a[100:101], a[28:29], v[8:11]// 000000008E98: D3F30008 1C223964
	s_add_u32 s60, 0x100, s80                                  // 000000008EA0: 803C50FF 00000100
	s_cmp_lt_u32 s60, s81                                      // 000000008EA8: BF0A513C
	s_cselect_b32 s83, s83, 0                                  // 000000008EAC: 85538053
	s_cselect_b32 s4, s4, 0                                    // 000000008EB0: 85048004
	v_mfma_f32_16x16x32_fp8_fp8 v[8:11], a[102:103], a[30:31], v[8:11]// 000000008EB4: D3F30008 1C223D66
	s_add_u32 s24, s58, s24                                    // 000000008EBC: 8018183A
	s_addc_u32 s25, 0, s25                                     // 000000008EC0: 82191980
	v_fma_f32 v112, v12, v4, v112                              // 000000008EC4: D1CB0070 05C2090C
	v_fma_f32 v113, v13, v4, v113                              // 000000008ECC: D1CB0071 05C6090D
	v_fma_f32 v114, v14, v4, v114                              // 000000008ED4: D1CB0072 05CA090E
	v_fma_f32 v115, v15, v4, v115                              // 000000008EDC: D1CB0073 05CE090F
	v_mfma_f32_16x16x32_fp8_fp8 v[12:15], a[104:105], a[24:25], 0// 000000008EE4: D3F3000C 1A023168
	s_add_u32 s20, s57, s20                                    // 000000008EEC: 80141439
	s_addc_u32 s21, 0, s21                                     // 000000008EF0: 82151580
	s_add_u32 s28, s3, s28                                     // 000000008EF4: 801C1C03
	s_addc_u32 s29, 0, s29                                     // 000000008EF8: 821D1D80
	v_mfma_f32_16x16x32_fp8_fp8 v[12:15], a[106:107], a[26:27], v[12:15]// 000000008EFC: D3F3000C 1C32356A
	s_add_u32 s84, s83, s84                                    // 000000008F04: 80545453
	s_addc_u32 s85, 0, s85                                     // 000000008F08: 82555580
	v_mfma_f32_16x16x32_fp8_fp8 v[12:15], a[108:109], a[28:29], v[12:15]// 000000008F0C: D3F3000C 1C32396C
	s_add_u32 s32, s4, s32                                     // 000000008F14: 80202004
	s_addc_u32 s33, 0, s33                                     // 000000008F18: 82212180
	v_mfma_f32_16x16x32_fp8_fp8 v[12:15], a[110:111], a[30:31], v[12:15]// 000000008F1C: D3F3000C 1C323D6E
	v_fma_f32 v100, v8, v6, v100                               // 000000008F24: D1CB0064 05920D08
	v_fma_f32 v101, v9, v6, v101                               // 000000008F2C: D1CB0065 05960D09
	v_fma_f32 v102, v10, v6, v102                              // 000000008F34: D1CB0066 059A0D0A
	v_fma_f32 v103, v11, v6, v103                              // 000000008F3C: D1CB0067 059E0D0B
	v_fma_f32 v116, v12, v6, v116                              // 000000008F44: D1CB0074 05D20D0C
	v_fma_f32 v117, v13, v6, v117                              // 000000008F4C: D1CB0075 05D60D0D
	v_fma_f32 v118, v14, v6, v118                              // 000000008F54: D1CB0076 05DA0D0E
	v_fma_f32 v119, v15, v6, v119                              // 000000008F5C: D1CB0077 05DE0D0F
	s_addk_i32 s80, 0x80                                       // 000000008F64: B7500080
	s_cmp_lt_i32 s80, s81                                      // 000000008F68: BF045150
	s_cbranch_scc0 label_1DCB                                  // 000000008F6C: BF84046C
	s_waitcnt vmcnt(17) lgkmcnt(0)                             // 000000008F70: BF8C4071
	v_mul_f32_dpp v4, v24, v34 row_newbcast:0 row_mask:0xf bank_mask:0xf// 000000008F74: 0A0844FA FF015018
	v_mfma_f32_16x16x32_fp8_fp8 v[8:11], a[64:65], a[32:33], 0 // 000000008F7C: D3F30008 1A024140
	buffer_load_dword v25, v22, s[32:35], 0 offen              // 000000008F84: E0501000 80081916
	buffer_load_dwordx4 a[96:99], v54, s[24:27], 0 offen       // 000000008F8C: E05C1000 80866036
	v_mfma_f32_16x16x32_fp8_fp8 v[8:11], a[66:67], a[34:35], v[8:11]// 000000008F94: D3F30008 1C224542
	v_mfma_f32_16x16x32_fp8_fp8 v[8:11], a[68:69], a[36:37], v[8:11]// 000000008F9C: D3F30008 1C224944
	v_mfma_f32_16x16x32_fp8_fp8 v[8:11], a[70:71], a[38:39], v[8:11]// 000000008FA4: D3F30008 1C224D46
	v_mfma_f32_16x16x32_fp8_fp8 v[12:15], a[72:73], a[32:33], 0// 000000008FAC: D3F3000C 1A024148
	buffer_load_dwordx4 a[100:103], v54, s[24:27], 0 offen offset:1024// 000000008FB4: E05C1400 80866436
	v_mfma_f32_16x16x32_fp8_fp8 v[12:15], a[74:75], a[34:35], v[12:15]// 000000008FBC: D3F3000C 1C32454A
	v_mfma_f32_16x16x32_fp8_fp8 v[12:15], a[76:77], a[36:37], v[12:15]// 000000008FC4: D3F3000C 1C32494C
	v_mfma_f32_16x16x32_fp8_fp8 v[12:15], a[78:79], a[38:39], v[12:15]// 000000008FCC: D3F3000C 1C324D4E
	v_fma_f32 v56, v8, v4, v56                                 // 000000008FD4: D1CB0038 04E20908
	v_fma_f32 v57, v9, v4, v57                                 // 000000008FDC: D1CB0039 04E60909
	v_fma_f32 v58, v10, v4, v58                                // 000000008FE4: D1CB003A 04EA090A
	v_fma_f32 v59, v11, v4, v59                                // 000000008FEC: D1CB003B 04EE090B
	v_mul_f32_dpp v6, v24, v35 row_newbcast:0 row_mask:0xf bank_mask:0xf// 000000008FF4: 0A0C46FA FF015018
	v_mfma_f32_16x16x32_fp8_fp8 v[8:11], a[64:65], a[40:41], 0 // 000000008FFC: D3F30008 1A025140
	buffer_load_dwordx4 a[104:107], v55, s[24:27], 0 offen     // 000000009004: E05C1000 80866837
	v_mfma_f32_16x16x32_fp8_fp8 v[8:11], a[66:67], a[42:43], v[8:11]// 00000000900C: D3F30008 1C225542
	v_mfma_f32_16x16x32_fp8_fp8 v[8:11], a[68:69], a[44:45], v[8:11]// 000000009014: D3F30008 1C225944
	v_mfma_f32_16x16x32_fp8_fp8 v[8:11], a[70:71], a[46:47], v[8:11]// 00000000901C: D3F30008 1C225D46
	v_fma_f32 v72, v12, v4, v72                                // 000000009024: D1CB0048 0522090C
	v_fma_f32 v73, v13, v4, v73                                // 00000000902C: D1CB0049 0526090D
	v_fma_f32 v74, v14, v4, v74                                // 000000009034: D1CB004A 052A090E
	v_fma_f32 v75, v15, v4, v75                                // 00000000903C: D1CB004B 052E090F
	v_mfma_f32_16x16x32_fp8_fp8 v[12:15], a[72:73], a[40:41], 0// 000000009044: D3F3000C 1A025148
	buffer_load_dwordx4 a[108:111], v55, s[24:27], 0 offen offset:1024// 00000000904C: E05C1400 80866C37
	buffer_load_dword v46, s[20:23], 0 offen lds               // 000000009054: E0511000 8005002E
	s_add_u32 m0, 0x100, s50                                   // 00000000905C: 807C32FF 00000100
	v_mfma_f32_16x16x32_fp8_fp8 v[12:15], a[74:75], a[42:43], v[12:15]// 000000009064: D3F3000C 1C32554A
	v_mfma_f32_16x16x32_fp8_fp8 v[12:15], a[76:77], a[44:45], v[12:15]// 00000000906C: D3F3000C 1C32594C
	buffer_load_dword v47, s[20:23], 0 offen lds               // 000000009074: E0511000 8005002F
	s_add_u32 m0, 0x200, s50                                   // 00000000907C: 807C32FF 00000200
	v_mfma_f32_16x16x32_fp8_fp8 v[12:15], a[78:79], a[46:47], v[12:15]// 000000009084: D3F3000C 1C325D4E
	v_fma_f32 v60, v8, v6, v60                                 // 00000000908C: D1CB003C 04F20D08
	v_fma_f32 v61, v9, v6, v61                                 // 000000009094: D1CB003D 04F60D09
	v_fma_f32 v62, v10, v6, v62                                // 00000000909C: D1CB003E 04FA0D0A
	v_fma_f32 v63, v11, v6, v63                                // 0000000090A4: D1CB003F 04FE0D0B
	v_mul_f32_dpp v4, v24, v36 row_newbcast:0 row_mask:0xf bank_mask:0xf// 0000000090AC: 0A0848FA FF015018
	v_mfma_f32_16x16x32_fp8_fp8 v[8:11], a[64:65], a[48:49], 0 // 0000000090B4: D3F30008 1A026140
	buffer_load_dword v48, s[20:23], 0 offen lds               // 0000000090BC: E0511000 80050030
	s_add_u32 m0, 0x300, s50                                   // 0000000090C4: 807C32FF 00000300
	v_mfma_f32_16x16x32_fp8_fp8 v[8:11], a[66:67], a[50:51], v[8:11]// 0000000090CC: D3F30008 1C226542
	v_mfma_f32_16x16x32_fp8_fp8 v[8:11], a[68:69], a[52:53], v[8:11]// 0000000090D4: D3F30008 1C226944
	buffer_load_dword v49, s[20:23], 0 offen lds               // 0000000090DC: E0511000 80050031
	s_add_u32 m0, 0x400, s50                                   // 0000000090E4: 807C32FF 00000400
	v_mfma_f32_16x16x32_fp8_fp8 v[8:11], a[70:71], a[54:55], v[8:11]// 0000000090EC: D3F30008 1C226D46
	v_fma_f32 v76, v12, v6, v76                                // 0000000090F4: D1CB004C 05320D0C
	v_fma_f32 v77, v13, v6, v77                                // 0000000090FC: D1CB004D 05360D0D
	v_fma_f32 v78, v14, v6, v78                                // 000000009104: D1CB004E 053A0D0E
	v_fma_f32 v79, v15, v6, v79                                // 00000000910C: D1CB004F 053E0D0F
	v_mfma_f32_16x16x32_fp8_fp8 v[12:15], a[72:73], a[48:49], 0// 000000009114: D3F3000C 1A026148
	buffer_load_dword v50, s[20:23], 0 offen lds               // 00000000911C: E0511000 80050032
	s_add_u32 m0, 0x500, s50                                   // 000000009124: 807C32FF 00000500
	v_mfma_f32_16x16x32_fp8_fp8 v[12:15], a[74:75], a[50:51], v[12:15]// 00000000912C: D3F3000C 1C32654A
	v_mfma_f32_16x16x32_fp8_fp8 v[12:15], a[76:77], a[52:53], v[12:15]// 000000009134: D3F3000C 1C32694C
	buffer_load_dword v51, s[20:23], 0 offen lds               // 00000000913C: E0511000 80050033
	s_add_u32 m0, 0x600, s50                                   // 000000009144: 807C32FF 00000600
	v_mfma_f32_16x16x32_fp8_fp8 v[12:15], a[78:79], a[54:55], v[12:15]// 00000000914C: D3F3000C 1C326D4E
	v_fma_f32 v64, v8, v4, v64                                 // 000000009154: D1CB0040 05020908
	v_fma_f32 v65, v9, v4, v65                                 // 00000000915C: D1CB0041 05060909
	v_fma_f32 v66, v10, v4, v66                                // 000000009164: D1CB0042 050A090A
	v_fma_f32 v67, v11, v4, v67                                // 00000000916C: D1CB0043 050E090B
	v_mul_f32_dpp v6, v24, v37 row_newbcast:0 row_mask:0xf bank_mask:0xf// 000000009174: 0A0C4AFA FF015018
	v_mfma_f32_16x16x32_fp8_fp8 v[8:11], a[64:65], a[56:57], 0 // 00000000917C: D3F30008 1A027140
	buffer_load_dword v52, s[20:23], 0 offen lds               // 000000009184: E0511000 80050034
	s_add_u32 m0, 0x700, s50                                   // 00000000918C: 807C32FF 00000700
	v_mfma_f32_16x16x32_fp8_fp8 v[8:11], a[66:67], a[58:59], v[8:11]// 000000009194: D3F30008 1C227542
	v_mfma_f32_16x16x32_fp8_fp8 v[8:11], a[68:69], a[60:61], v[8:11]// 00000000919C: D3F30008 1C227944
	buffer_load_dword v53, s[20:23], 0 offen lds               // 0000000091A4: E0511000 80050035
	s_add_u32 m0, 0, s48                                       // 0000000091AC: 807C3080
	v_mfma_f32_16x16x32_fp8_fp8 v[8:11], a[70:71], a[62:63], v[8:11]// 0000000091B0: D3F30008 1C227D46
	v_fma_f32 v80, v12, v4, v80                                // 0000000091B8: D1CB0050 0542090C
	v_fma_f32 v81, v13, v4, v81                                // 0000000091C0: D1CB0051 0546090D
	v_fma_f32 v82, v14, v4, v82                                // 0000000091C8: D1CB0052 054A090E
	v_fma_f32 v83, v15, v4, v83                                // 0000000091D0: D1CB0053 054E090F
	v_mfma_f32_16x16x32_fp8_fp8 v[12:15], a[72:73], a[56:57], 0// 0000000091D8: D3F3000C 1A027148
	buffer_load_dword v42, v30, s[28:31], 0 offen              // 0000000091E0: E0501000 80072A1E
	v_mfma_f32_16x16x32_fp8_fp8 v[12:15], a[74:75], a[58:59], v[12:15]// 0000000091E8: D3F3000C 1C32754A
	v_mfma_f32_16x16x32_fp8_fp8 v[12:15], a[76:77], a[60:61], v[12:15]// 0000000091F0: D3F3000C 1C32794C
	buffer_load_dword v43, v31, s[28:31], 0 offen              // 0000000091F8: E0501000 80072B1F
	v_mfma_f32_16x16x32_fp8_fp8 v[12:15], a[78:79], a[62:63], v[12:15]// 000000009200: D3F3000C 1C327D4E
	v_fma_f32 v68, v8, v6, v68                                 // 000000009208: D1CB0044 05120D08
	v_fma_f32 v69, v9, v6, v69                                 // 000000009210: D1CB0045 05160D09
	v_fma_f32 v70, v10, v6, v70                                // 000000009218: D1CB0046 051A0D0A
	v_fma_f32 v71, v11, v6, v71                                // 000000009220: D1CB0047 051E0D0B
	v_fma_f32 v84, v12, v6, v84                                // 000000009228: D1CB0054 05520D0C
	v_fma_f32 v85, v13, v6, v85                                // 000000009230: D1CB0055 05560D0D
	v_fma_f32 v86, v14, v6, v86                                // 000000009238: D1CB0056 055A0D0E
	v_fma_f32 v87, v15, v6, v87                                // 000000009240: D1CB0057 055E0D0F
	buffer_load_dword v44, v32, s[28:31], 0 offen              // 000000009248: E0501000 80072C20
	buffer_load_dword v45, v33, s[28:31], 0 offen              // 000000009250: E0501000 80072D21
	s_waitcnt vmcnt(17)                                        // 000000009258: BF8C4F71
	s_barrier                                                  // 00000000925C: BF8A0000
	v_mul_f32_dpp v4, v27, v34 row_newbcast:0 row_mask:0xf bank_mask:0xf// 000000009260: 0A0844FA FF01501B
	v_mfma_f32_16x16x32_fp8_fp8 v[8:11], a[80:81], a[32:33], 0 // 000000009268: D3F30008 1A024150
	buffer_load_dword v28, v23, s[32:35], 0 offen              // 000000009270: E0501000 80081C17
	buffer_load_dwordx4 a[64:67], v54, s[84:87], 0 offen       // 000000009278: E05C1000 80954036
	v_mfma_f32_16x16x32_fp8_fp8 v[8:11], a[82:83], a[34:35], v[8:11]// 000000009280: D3F30008 1C224552
	v_mfma_f32_16x16x32_fp8_fp8 v[8:11], a[84:85], a[36:37], v[8:11]// 000000009288: D3F30008 1C224954
	ds_read_b128 a[0:3], v2 offset:8320                        // 000000009290: DBFE2080 00000002
	ds_read_b128 a[4:7], v2 offset:8384                        // 000000009298: DBFE20C0 04000002
	v_mfma_f32_16x16x32_fp8_fp8 v[8:11], a[86:87], a[38:39], v[8:11]// 0000000092A0: D3F30008 1C224D56
	v_mfma_f32_16x16x32_fp8_fp8 v[12:15], a[88:89], a[32:33], 0// 0000000092A8: D3F3000C 1A024158
	buffer_load_dwordx4 a[68:71], v54, s[84:87], 0 offen offset:1024// 0000000092B0: E05C1400 80954436
	v_mfma_f32_16x16x32_fp8_fp8 v[12:15], a[90:91], a[34:35], v[12:15]// 0000000092B8: D3F3000C 1C32455A
	v_mfma_f32_16x16x32_fp8_fp8 v[12:15], a[92:93], a[36:37], v[12:15]// 0000000092C0: D3F3000C 1C32495C
	ds_read_b128 a[8:11], v2 offset:8832                       // 0000000092C8: DBFE2280 08000002
	ds_read_b128 a[12:15], v2 offset:8896                      // 0000000092D0: DBFE22C0 0C000002
	v_mfma_f32_16x16x32_fp8_fp8 v[12:15], a[94:95], a[38:39], v[12:15]// 0000000092D8: D3F3000C 1C324D5E
	v_fma_f32 v88, v8, v4, v88                                 // 0000000092E0: D1CB0058 05620908
	v_fma_f32 v89, v9, v4, v89                                 // 0000000092E8: D1CB0059 05660909
	v_fma_f32 v90, v10, v4, v90                                // 0000000092F0: D1CB005A 056A090A
	v_fma_f32 v91, v11, v4, v91                                // 0000000092F8: D1CB005B 056E090B
	v_mul_f32_dpp v6, v27, v35 row_newbcast:0 row_mask:0xf bank_mask:0xf// 000000009300: 0A0C46FA FF01501B
	v_mfma_f32_16x16x32_fp8_fp8 v[8:11], a[80:81], a[40:41], 0 // 000000009308: D3F30008 1A025150
	buffer_load_dwordx4 a[72:75], v55, s[84:87], 0 offen       // 000000009310: E05C1000 80954837
	v_mfma_f32_16x16x32_fp8_fp8 v[8:11], a[82:83], a[42:43], v[8:11]// 000000009318: D3F30008 1C225552
	v_mfma_f32_16x16x32_fp8_fp8 v[8:11], a[84:85], a[44:45], v[8:11]// 000000009320: D3F30008 1C225954
	ds_read_b128 a[16:19], v2 offset:9344                      // 000000009328: DBFE2480 10000002
	ds_read_b128 a[20:23], v2 offset:9408                      // 000000009330: DBFE24C0 14000002
	v_mfma_f32_16x16x32_fp8_fp8 v[8:11], a[86:87], a[46:47], v[8:11]// 000000009338: D3F30008 1C225D56
	v_fma_f32 v104, v12, v4, v104                              // 000000009340: D1CB0068 05A2090C
	v_fma_f32 v105, v13, v4, v105                              // 000000009348: D1CB0069 05A6090D
	v_fma_f32 v106, v14, v4, v106                              // 000000009350: D1CB006A 05AA090E
	v_fma_f32 v107, v15, v4, v107                              // 000000009358: D1CB006B 05AE090F
	v_mfma_f32_16x16x32_fp8_fp8 v[12:15], a[88:89], a[40:41], 0// 000000009360: D3F3000C 1A025158
	buffer_load_dwordx4 a[76:79], v55, s[84:87], 0 offen offset:1024// 000000009368: E05C1400 80954C37
	v_mfma_f32_16x16x32_fp8_fp8 v[12:15], a[90:91], a[42:43], v[12:15]// 000000009370: D3F3000C 1C32555A
	v_mfma_f32_16x16x32_fp8_fp8 v[12:15], a[92:93], a[44:45], v[12:15]// 000000009378: D3F3000C 1C32595C
	ds_read_b128 a[24:27], v2 offset:9856                      // 000000009380: DBFE2680 18000002
	ds_read_b128 a[28:31], v2 offset:9920                      // 000000009388: DBFE26C0 1C000002
	v_mfma_f32_16x16x32_fp8_fp8 v[12:15], a[94:95], a[46:47], v[12:15]// 000000009390: D3F3000C 1C325D5E
	v_fma_f32 v92, v8, v6, v92                                 // 000000009398: D1CB005C 05720D08
	v_fma_f32 v93, v9, v6, v93                                 // 0000000093A0: D1CB005D 05760D09
	v_fma_f32 v94, v10, v6, v94                                // 0000000093A8: D1CB005E 057A0D0A
	v_fma_f32 v95, v11, v6, v95                                // 0000000093B0: D1CB005F 057E0D0B
	v_mul_f32_dpp v4, v27, v36 row_newbcast:0 row_mask:0xf bank_mask:0xf// 0000000093B8: 0A0848FA FF01501B
	v_mfma_f32_16x16x32_fp8_fp8 v[8:11], a[80:81], a[48:49], 0 // 0000000093C0: D3F30008 1A026150
	v_mfma_f32_16x16x32_fp8_fp8 v[8:11], a[82:83], a[50:51], v[8:11]// 0000000093C8: D3F30008 1C226552
	v_mfma_f32_16x16x32_fp8_fp8 v[8:11], a[84:85], a[52:53], v[8:11]// 0000000093D0: D3F30008 1C226954
	v_mfma_f32_16x16x32_fp8_fp8 v[8:11], a[86:87], a[54:55], v[8:11]// 0000000093D8: D3F30008 1C226D56
	v_fma_f32 v108, v12, v6, v108                              // 0000000093E0: D1CB006C 05B20D0C
	v_fma_f32 v109, v13, v6, v109                              // 0000000093E8: D1CB006D 05B60D0D
	v_fma_f32 v110, v14, v6, v110                              // 0000000093F0: D1CB006E 05BA0D0E
	v_fma_f32 v111, v15, v6, v111                              // 0000000093F8: D1CB006F 05BE0D0F
	v_mfma_f32_16x16x32_fp8_fp8 v[12:15], a[88:89], a[48:49], 0// 000000009400: D3F3000C 1A026158
	v_mfma_f32_16x16x32_fp8_fp8 v[12:15], a[90:91], a[50:51], v[12:15]// 000000009408: D3F3000C 1C32655A
	v_mfma_f32_16x16x32_fp8_fp8 v[12:15], a[92:93], a[52:53], v[12:15]// 000000009410: D3F3000C 1C32695C
	v_mfma_f32_16x16x32_fp8_fp8 v[12:15], a[94:95], a[54:55], v[12:15]// 000000009418: D3F3000C 1C326D5E
	v_fma_f32 v96, v8, v4, v96                                 // 000000009420: D1CB0060 05820908
	v_fma_f32 v97, v9, v4, v97                                 // 000000009428: D1CB0061 05860909
	v_fma_f32 v98, v10, v4, v98                                // 000000009430: D1CB0062 058A090A
	v_fma_f32 v99, v11, v4, v99                                // 000000009438: D1CB0063 058E090B
	v_mul_f32_dpp v6, v27, v37 row_newbcast:0 row_mask:0xf bank_mask:0xf// 000000009440: 0A0C4AFA FF01501B
	v_mfma_f32_16x16x32_fp8_fp8 v[8:11], a[80:81], a[56:57], 0 // 000000009448: D3F30008 1A027150
	s_add_u32 s60, 0x180, s80                                  // 000000009450: 803C50FF 00000180
	s_cmp_lt_u32 s60, s81                                      // 000000009458: BF0A513C
	s_cselect_b32 s57, s57, 0                                  // 00000000945C: 85398039
	s_cselect_b32 s3, s3, 0                                    // 000000009460: 85038003
	v_mfma_f32_16x16x32_fp8_fp8 v[8:11], a[82:83], a[58:59], v[8:11]// 000000009464: D3F30008 1C227552
	s_add_u32 s60, 0x100, s80                                  // 00000000946C: 803C50FF 00000100
	s_cmp_lt_u32 s60, s81                                      // 000000009474: BF0A513C
	s_cselect_b32 s58, s58, 0                                  // 000000009478: 853A803A
	v_mfma_f32_16x16x32_fp8_fp8 v[8:11], a[84:85], a[60:61], v[8:11]// 00000000947C: D3F30008 1C227954
	s_add_u32 s60, 0x100, s80                                  // 000000009484: 803C50FF 00000100
	s_cmp_lt_u32 s60, s81                                      // 00000000948C: BF0A513C
	s_cselect_b32 s83, s83, 0                                  // 000000009490: 85538053
	s_cselect_b32 s4, s4, 0                                    // 000000009494: 85048004
	v_mfma_f32_16x16x32_fp8_fp8 v[8:11], a[86:87], a[62:63], v[8:11]// 000000009498: D3F30008 1C227D56
	s_add_u32 s24, s58, s24                                    // 0000000094A0: 8018183A
	s_addc_u32 s25, 0, s25                                     // 0000000094A4: 82191980
	v_fma_f32 v112, v12, v4, v112                              // 0000000094A8: D1CB0070 05C2090C
	v_fma_f32 v113, v13, v4, v113                              // 0000000094B0: D1CB0071 05C6090D
	v_fma_f32 v114, v14, v4, v114                              // 0000000094B8: D1CB0072 05CA090E
	v_fma_f32 v115, v15, v4, v115                              // 0000000094C0: D1CB0073 05CE090F
	v_mfma_f32_16x16x32_fp8_fp8 v[12:15], a[88:89], a[56:57], 0// 0000000094C8: D3F3000C 1A027158
	s_add_u32 s20, s57, s20                                    // 0000000094D0: 80141439
	s_addc_u32 s21, 0, s21                                     // 0000000094D4: 82151580
	s_add_u32 s28, s3, s28                                     // 0000000094D8: 801C1C03
	s_addc_u32 s29, 0, s29                                     // 0000000094DC: 821D1D80
	v_mfma_f32_16x16x32_fp8_fp8 v[12:15], a[90:91], a[58:59], v[12:15]// 0000000094E0: D3F3000C 1C32755A
	s_add_u32 s84, s83, s84                                    // 0000000094E8: 80545453
	s_addc_u32 s85, 0, s85                                     // 0000000094EC: 82555580
	v_mfma_f32_16x16x32_fp8_fp8 v[12:15], a[92:93], a[60:61], v[12:15]// 0000000094F0: D3F3000C 1C32795C
	s_add_u32 s32, s4, s32                                     // 0000000094F8: 80202004
	s_addc_u32 s33, 0, s33                                     // 0000000094FC: 82212180
	v_mfma_f32_16x16x32_fp8_fp8 v[12:15], a[94:95], a[62:63], v[12:15]// 000000009500: D3F3000C 1C327D5E
	v_fma_f32 v100, v8, v6, v100                               // 000000009508: D1CB0064 05920D08
	v_fma_f32 v101, v9, v6, v101                               // 000000009510: D1CB0065 05960D09
	v_fma_f32 v102, v10, v6, v102                              // 000000009518: D1CB0066 059A0D0A
	v_fma_f32 v103, v11, v6, v103                              // 000000009520: D1CB0067 059E0D0B
	v_fma_f32 v116, v12, v6, v116                              // 000000009528: D1CB0074 05D20D0C
	v_fma_f32 v117, v13, v6, v117                              // 000000009530: D1CB0075 05D60D0D
	v_fma_f32 v118, v14, v6, v118                              // 000000009538: D1CB0076 05DA0D0E
	v_fma_f32 v119, v15, v6, v119                              // 000000009540: D1CB0077 05DE0D0F
	s_addk_i32 s80, 0x80                                       // 000000009548: B7500080
	s_cmp_lt_i32 s80, s81                                      // 00000000954C: BF045150
	s_cbranch_scc0 label_1DCB                                  // 000000009550: BF8402F3
	s_waitcnt vmcnt(17) lgkmcnt(0)                             // 000000009554: BF8C4071
	v_mul_f32_dpp v4, v25, v38 row_newbcast:0 row_mask:0xf bank_mask:0xf// 000000009558: 0A084CFA FF015019
	v_mfma_f32_16x16x32_fp8_fp8 v[8:11], a[96:97], a[0:1], 0   // 000000009560: D3F30008 1A020160
	buffer_load_dword v26, v22, s[32:35], 0 offen              // 000000009568: E0501000 80081A16
	buffer_load_dwordx4 a[80:83], v54, s[24:27], 0 offen       // 000000009570: E05C1000 80865036
	v_mfma_f32_16x16x32_fp8_fp8 v[8:11], a[98:99], a[2:3], v[8:11]// 000000009578: D3F30008 1C220562
	v_mfma_f32_16x16x32_fp8_fp8 v[8:11], a[100:101], a[4:5], v[8:11]// 000000009580: D3F30008 1C220964
	v_mfma_f32_16x16x32_fp8_fp8 v[8:11], a[102:103], a[6:7], v[8:11]// 000000009588: D3F30008 1C220D66
	v_mfma_f32_16x16x32_fp8_fp8 v[12:15], a[104:105], a[0:1], 0// 000000009590: D3F3000C 1A020168
	buffer_load_dwordx4 a[84:87], v54, s[24:27], 0 offen offset:1024// 000000009598: E05C1400 80865436
	v_mfma_f32_16x16x32_fp8_fp8 v[12:15], a[106:107], a[2:3], v[12:15]// 0000000095A0: D3F3000C 1C32056A
	v_mfma_f32_16x16x32_fp8_fp8 v[12:15], a[108:109], a[4:5], v[12:15]// 0000000095A8: D3F3000C 1C32096C
	v_mfma_f32_16x16x32_fp8_fp8 v[12:15], a[110:111], a[6:7], v[12:15]// 0000000095B0: D3F3000C 1C320D6E
	v_fma_f32 v56, v8, v4, v56                                 // 0000000095B8: D1CB0038 04E20908
	v_fma_f32 v57, v9, v4, v57                                 // 0000000095C0: D1CB0039 04E60909
	v_fma_f32 v58, v10, v4, v58                                // 0000000095C8: D1CB003A 04EA090A
	v_fma_f32 v59, v11, v4, v59                                // 0000000095D0: D1CB003B 04EE090B
	v_mul_f32_dpp v6, v25, v39 row_newbcast:0 row_mask:0xf bank_mask:0xf// 0000000095D8: 0A0C4EFA FF015019
	v_mfma_f32_16x16x32_fp8_fp8 v[8:11], a[96:97], a[8:9], 0   // 0000000095E0: D3F30008 1A021160
	buffer_load_dwordx4 a[88:91], v55, s[24:27], 0 offen       // 0000000095E8: E05C1000 80865837
	v_mfma_f32_16x16x32_fp8_fp8 v[8:11], a[98:99], a[10:11], v[8:11]// 0000000095F0: D3F30008 1C221562
	v_mfma_f32_16x16x32_fp8_fp8 v[8:11], a[100:101], a[12:13], v[8:11]// 0000000095F8: D3F30008 1C221964
	v_mfma_f32_16x16x32_fp8_fp8 v[8:11], a[102:103], a[14:15], v[8:11]// 000000009600: D3F30008 1C221D66
	v_fma_f32 v72, v12, v4, v72                                // 000000009608: D1CB0048 0522090C
	v_fma_f32 v73, v13, v4, v73                                // 000000009610: D1CB0049 0526090D
	v_fma_f32 v74, v14, v4, v74                                // 000000009618: D1CB004A 052A090E
	v_fma_f32 v75, v15, v4, v75                                // 000000009620: D1CB004B 052E090F
	v_mfma_f32_16x16x32_fp8_fp8 v[12:15], a[104:105], a[8:9], 0// 000000009628: D3F3000C 1A021168
	buffer_load_dwordx4 a[92:95], v55, s[24:27], 0 offen offset:1024// 000000009630: E05C1400 80865C37
	buffer_load_dword v46, s[20:23], 0 offen lds               // 000000009638: E0511000 8005002E
	s_add_u32 m0, 0x100, s48                                   // 000000009640: 807C30FF 00000100
	v_mfma_f32_16x16x32_fp8_fp8 v[12:15], a[106:107], a[10:11], v[12:15]// 000000009648: D3F3000C 1C32156A
	v_mfma_f32_16x16x32_fp8_fp8 v[12:15], a[108:109], a[12:13], v[12:15]// 000000009650: D3F3000C 1C32196C
	buffer_load_dword v47, s[20:23], 0 offen lds               // 000000009658: E0511000 8005002F
	s_add_u32 m0, 0x200, s48                                   // 000000009660: 807C30FF 00000200
	v_mfma_f32_16x16x32_fp8_fp8 v[12:15], a[110:111], a[14:15], v[12:15]// 000000009668: D3F3000C 1C321D6E
	v_fma_f32 v60, v8, v6, v60                                 // 000000009670: D1CB003C 04F20D08
	v_fma_f32 v61, v9, v6, v61                                 // 000000009678: D1CB003D 04F60D09
	v_fma_f32 v62, v10, v6, v62                                // 000000009680: D1CB003E 04FA0D0A
	v_fma_f32 v63, v11, v6, v63                                // 000000009688: D1CB003F 04FE0D0B
	v_mul_f32_dpp v4, v25, v40 row_newbcast:0 row_mask:0xf bank_mask:0xf// 000000009690: 0A0850FA FF015019
	v_mfma_f32_16x16x32_fp8_fp8 v[8:11], a[96:97], a[16:17], 0 // 000000009698: D3F30008 1A022160
	buffer_load_dword v48, s[20:23], 0 offen lds               // 0000000096A0: E0511000 80050030
	s_add_u32 m0, 0x300, s48                                   // 0000000096A8: 807C30FF 00000300
	v_mfma_f32_16x16x32_fp8_fp8 v[8:11], a[98:99], a[18:19], v[8:11]// 0000000096B0: D3F30008 1C222562
	v_mfma_f32_16x16x32_fp8_fp8 v[8:11], a[100:101], a[20:21], v[8:11]// 0000000096B8: D3F30008 1C222964
	buffer_load_dword v49, s[20:23], 0 offen lds               // 0000000096C0: E0511000 80050031
	s_add_u32 m0, 0x400, s48                                   // 0000000096C8: 807C30FF 00000400
	v_mfma_f32_16x16x32_fp8_fp8 v[8:11], a[102:103], a[22:23], v[8:11]// 0000000096D0: D3F30008 1C222D66
	v_fma_f32 v76, v12, v6, v76                                // 0000000096D8: D1CB004C 05320D0C
	v_fma_f32 v77, v13, v6, v77                                // 0000000096E0: D1CB004D 05360D0D
	v_fma_f32 v78, v14, v6, v78                                // 0000000096E8: D1CB004E 053A0D0E
	v_fma_f32 v79, v15, v6, v79                                // 0000000096F0: D1CB004F 053E0D0F
	v_mfma_f32_16x16x32_fp8_fp8 v[12:15], a[104:105], a[16:17], 0// 0000000096F8: D3F3000C 1A022168
	buffer_load_dword v50, s[20:23], 0 offen lds               // 000000009700: E0511000 80050032
	s_add_u32 m0, 0x500, s48                                   // 000000009708: 807C30FF 00000500
	v_mfma_f32_16x16x32_fp8_fp8 v[12:15], a[106:107], a[18:19], v[12:15]// 000000009710: D3F3000C 1C32256A
	v_mfma_f32_16x16x32_fp8_fp8 v[12:15], a[108:109], a[20:21], v[12:15]// 000000009718: D3F3000C 1C32296C
	buffer_load_dword v51, s[20:23], 0 offen lds               // 000000009720: E0511000 80050033
	s_add_u32 m0, 0x600, s48                                   // 000000009728: 807C30FF 00000600
	v_mfma_f32_16x16x32_fp8_fp8 v[12:15], a[110:111], a[22:23], v[12:15]// 000000009730: D3F3000C 1C322D6E
	v_fma_f32 v64, v8, v4, v64                                 // 000000009738: D1CB0040 05020908
	v_fma_f32 v65, v9, v4, v65                                 // 000000009740: D1CB0041 05060909
	v_fma_f32 v66, v10, v4, v66                                // 000000009748: D1CB0042 050A090A
	v_fma_f32 v67, v11, v4, v67                                // 000000009750: D1CB0043 050E090B
	v_mul_f32_dpp v6, v25, v41 row_newbcast:0 row_mask:0xf bank_mask:0xf// 000000009758: 0A0C52FA FF015019
	v_mfma_f32_16x16x32_fp8_fp8 v[8:11], a[96:97], a[24:25], 0 // 000000009760: D3F30008 1A023160
	buffer_load_dword v52, s[20:23], 0 offen lds               // 000000009768: E0511000 80050034
	s_add_u32 m0, 0x700, s48                                   // 000000009770: 807C30FF 00000700
	v_mfma_f32_16x16x32_fp8_fp8 v[8:11], a[98:99], a[26:27], v[8:11]// 000000009778: D3F30008 1C223562
	v_mfma_f32_16x16x32_fp8_fp8 v[8:11], a[100:101], a[28:29], v[8:11]// 000000009780: D3F30008 1C223964
	buffer_load_dword v53, s[20:23], 0 offen lds               // 000000009788: E0511000 80050035
	s_add_u32 m0, 0, s49                                       // 000000009790: 807C3180
	v_mfma_f32_16x16x32_fp8_fp8 v[8:11], a[102:103], a[30:31], v[8:11]// 000000009794: D3F30008 1C223D66
	v_fma_f32 v80, v12, v4, v80                                // 00000000979C: D1CB0050 0542090C
	v_fma_f32 v81, v13, v4, v81                                // 0000000097A4: D1CB0051 0546090D
	v_fma_f32 v82, v14, v4, v82                                // 0000000097AC: D1CB0052 054A090E
	v_fma_f32 v83, v15, v4, v83                                // 0000000097B4: D1CB0053 054E090F
	v_mfma_f32_16x16x32_fp8_fp8 v[12:15], a[104:105], a[24:25], 0// 0000000097BC: D3F3000C 1A023168
	buffer_load_dword v34, v30, s[28:31], 0 offen              // 0000000097C4: E0501000 8007221E
	v_mfma_f32_16x16x32_fp8_fp8 v[12:15], a[106:107], a[26:27], v[12:15]// 0000000097CC: D3F3000C 1C32356A
	v_mfma_f32_16x16x32_fp8_fp8 v[12:15], a[108:109], a[28:29], v[12:15]// 0000000097D4: D3F3000C 1C32396C
	buffer_load_dword v35, v31, s[28:31], 0 offen              // 0000000097DC: E0501000 8007231F
	v_mfma_f32_16x16x32_fp8_fp8 v[12:15], a[110:111], a[30:31], v[12:15]// 0000000097E4: D3F3000C 1C323D6E
	v_fma_f32 v68, v8, v6, v68                                 // 0000000097EC: D1CB0044 05120D08
	v_fma_f32 v69, v9, v6, v69                                 // 0000000097F4: D1CB0045 05160D09
	v_fma_f32 v70, v10, v6, v70                                // 0000000097FC: D1CB0046 051A0D0A
	v_fma_f32 v71, v11, v6, v71                                // 000000009804: D1CB0047 051E0D0B
	v_fma_f32 v84, v12, v6, v84                                // 00000000980C: D1CB0054 05520D0C
	v_fma_f32 v85, v13, v6, v85                                // 000000009814: D1CB0055 05560D0D
	v_fma_f32 v86, v14, v6, v86                                // 00000000981C: D1CB0056 055A0D0E
	v_fma_f32 v87, v15, v6, v87                                // 000000009824: D1CB0057 055E0D0F
	buffer_load_dword v36, v32, s[28:31], 0 offen              // 00000000982C: E0501000 80072420
	buffer_load_dword v37, v33, s[28:31], 0 offen              // 000000009834: E0501000 80072521
	s_waitcnt vmcnt(17)                                        // 00000000983C: BF8C4F71
	s_barrier                                                  // 000000009840: BF8A0000
	v_mul_f32_dpp v4, v28, v38 row_newbcast:0 row_mask:0xf bank_mask:0xf// 000000009844: 0A084CFA FF01501C
	v_mfma_f32_16x16x32_fp8_fp8 v[8:11], a[64:65], a[0:1], 0   // 00000000984C: D3F30008 1A020140
	buffer_load_dword v29, v23, s[32:35], 0 offen              // 000000009854: E0501000 80081D17
	buffer_load_dwordx4 a[96:99], v54, s[84:87], 0 offen       // 00000000985C: E05C1000 80956036
	v_mfma_f32_16x16x32_fp8_fp8 v[8:11], a[66:67], a[2:3], v[8:11]// 000000009864: D3F30008 1C220542
	v_mfma_f32_16x16x32_fp8_fp8 v[8:11], a[68:69], a[4:5], v[8:11]// 00000000986C: D3F30008 1C220944
	ds_read_b128 a[32:35], v2 offset:16640                     // 000000009874: DBFE4100 20000002
	ds_read_b128 a[36:39], v2 offset:16704                     // 00000000987C: DBFE4140 24000002
	v_mfma_f32_16x16x32_fp8_fp8 v[8:11], a[70:71], a[6:7], v[8:11]// 000000009884: D3F30008 1C220D46
	v_mfma_f32_16x16x32_fp8_fp8 v[12:15], a[72:73], a[0:1], 0  // 00000000988C: D3F3000C 1A020148
	buffer_load_dwordx4 a[100:103], v54, s[84:87], 0 offen offset:1024// 000000009894: E05C1400 80956436
	v_mfma_f32_16x16x32_fp8_fp8 v[12:15], a[74:75], a[2:3], v[12:15]// 00000000989C: D3F3000C 1C32054A
	v_mfma_f32_16x16x32_fp8_fp8 v[12:15], a[76:77], a[4:5], v[12:15]// 0000000098A4: D3F3000C 1C32094C
	ds_read_b128 a[40:43], v2 offset:17152                     // 0000000098AC: DBFE4300 28000002
	ds_read_b128 a[44:47], v2 offset:17216                     // 0000000098B4: DBFE4340 2C000002
	v_mfma_f32_16x16x32_fp8_fp8 v[12:15], a[78:79], a[6:7], v[12:15]// 0000000098BC: D3F3000C 1C320D4E
	v_fma_f32 v88, v8, v4, v88                                 // 0000000098C4: D1CB0058 05620908
	v_fma_f32 v89, v9, v4, v89                                 // 0000000098CC: D1CB0059 05660909
	v_fma_f32 v90, v10, v4, v90                                // 0000000098D4: D1CB005A 056A090A
	v_fma_f32 v91, v11, v4, v91                                // 0000000098DC: D1CB005B 056E090B
	v_mul_f32_dpp v6, v28, v39 row_newbcast:0 row_mask:0xf bank_mask:0xf// 0000000098E4: 0A0C4EFA FF01501C
	v_mfma_f32_16x16x32_fp8_fp8 v[8:11], a[64:65], a[8:9], 0   // 0000000098EC: D3F30008 1A021140
	buffer_load_dwordx4 a[104:107], v55, s[84:87], 0 offen     // 0000000098F4: E05C1000 80956837
	v_mfma_f32_16x16x32_fp8_fp8 v[8:11], a[66:67], a[10:11], v[8:11]// 0000000098FC: D3F30008 1C221542
	v_mfma_f32_16x16x32_fp8_fp8 v[8:11], a[68:69], a[12:13], v[8:11]// 000000009904: D3F30008 1C221944
	ds_read_b128 a[48:51], v2 offset:17664                     // 00000000990C: DBFE4500 30000002
	ds_read_b128 a[52:55], v2 offset:17728                     // 000000009914: DBFE4540 34000002
	v_mfma_f32_16x16x32_fp8_fp8 v[8:11], a[70:71], a[14:15], v[8:11]// 00000000991C: D3F30008 1C221D46
	v_fma_f32 v104, v12, v4, v104                              // 000000009924: D1CB0068 05A2090C
	v_fma_f32 v105, v13, v4, v105                              // 00000000992C: D1CB0069 05A6090D
	v_fma_f32 v106, v14, v4, v106                              // 000000009934: D1CB006A 05AA090E
	v_fma_f32 v107, v15, v4, v107                              // 00000000993C: D1CB006B 05AE090F
	v_mfma_f32_16x16x32_fp8_fp8 v[12:15], a[72:73], a[8:9], 0  // 000000009944: D3F3000C 1A021148
	buffer_load_dwordx4 a[108:111], v55, s[84:87], 0 offen offset:1024// 00000000994C: E05C1400 80956C37
	v_mfma_f32_16x16x32_fp8_fp8 v[12:15], a[74:75], a[10:11], v[12:15]// 000000009954: D3F3000C 1C32154A
	v_mfma_f32_16x16x32_fp8_fp8 v[12:15], a[76:77], a[12:13], v[12:15]// 00000000995C: D3F3000C 1C32194C
	ds_read_b128 a[56:59], v2 offset:18176                     // 000000009964: DBFE4700 38000002
	ds_read_b128 a[60:63], v2 offset:18240                     // 00000000996C: DBFE4740 3C000002
	v_mfma_f32_16x16x32_fp8_fp8 v[12:15], a[78:79], a[14:15], v[12:15]// 000000009974: D3F3000C 1C321D4E
	v_fma_f32 v92, v8, v6, v92                                 // 00000000997C: D1CB005C 05720D08
	v_fma_f32 v93, v9, v6, v93                                 // 000000009984: D1CB005D 05760D09
	v_fma_f32 v94, v10, v6, v94                                // 00000000998C: D1CB005E 057A0D0A
	v_fma_f32 v95, v11, v6, v95                                // 000000009994: D1CB005F 057E0D0B
	v_mul_f32_dpp v4, v28, v40 row_newbcast:0 row_mask:0xf bank_mask:0xf// 00000000999C: 0A0850FA FF01501C
	v_mfma_f32_16x16x32_fp8_fp8 v[8:11], a[64:65], a[16:17], 0 // 0000000099A4: D3F30008 1A022140
	v_mfma_f32_16x16x32_fp8_fp8 v[8:11], a[66:67], a[18:19], v[8:11]// 0000000099AC: D3F30008 1C222542
	v_mfma_f32_16x16x32_fp8_fp8 v[8:11], a[68:69], a[20:21], v[8:11]// 0000000099B4: D3F30008 1C222944
	v_mfma_f32_16x16x32_fp8_fp8 v[8:11], a[70:71], a[22:23], v[8:11]// 0000000099BC: D3F30008 1C222D46
	v_fma_f32 v108, v12, v6, v108                              // 0000000099C4: D1CB006C 05B20D0C
	v_fma_f32 v109, v13, v6, v109                              // 0000000099CC: D1CB006D 05B60D0D
	v_fma_f32 v110, v14, v6, v110                              // 0000000099D4: D1CB006E 05BA0D0E
	v_fma_f32 v111, v15, v6, v111                              // 0000000099DC: D1CB006F 05BE0D0F
	v_mfma_f32_16x16x32_fp8_fp8 v[12:15], a[72:73], a[16:17], 0// 0000000099E4: D3F3000C 1A022148
	v_mfma_f32_16x16x32_fp8_fp8 v[12:15], a[74:75], a[18:19], v[12:15]// 0000000099EC: D3F3000C 1C32254A
	v_mfma_f32_16x16x32_fp8_fp8 v[12:15], a[76:77], a[20:21], v[12:15]// 0000000099F4: D3F3000C 1C32294C
	v_mfma_f32_16x16x32_fp8_fp8 v[12:15], a[78:79], a[22:23], v[12:15]// 0000000099FC: D3F3000C 1C322D4E
	v_fma_f32 v96, v8, v4, v96                                 // 000000009A04: D1CB0060 05820908
	v_fma_f32 v97, v9, v4, v97                                 // 000000009A0C: D1CB0061 05860909
	v_fma_f32 v98, v10, v4, v98                                // 000000009A14: D1CB0062 058A090A
	v_fma_f32 v99, v11, v4, v99                                // 000000009A1C: D1CB0063 058E090B
	v_mul_f32_dpp v6, v28, v41 row_newbcast:0 row_mask:0xf bank_mask:0xf// 000000009A24: 0A0C52FA FF01501C
	v_mfma_f32_16x16x32_fp8_fp8 v[8:11], a[64:65], a[24:25], 0 // 000000009A2C: D3F30008 1A023140
	s_add_u32 s60, 0x180, s80                                  // 000000009A34: 803C50FF 00000180
	s_cmp_lt_u32 s60, s81                                      // 000000009A3C: BF0A513C
	s_cselect_b32 s57, s57, 0                                  // 000000009A40: 85398039
	s_cselect_b32 s3, s3, 0                                    // 000000009A44: 85038003
	v_mfma_f32_16x16x32_fp8_fp8 v[8:11], a[66:67], a[26:27], v[8:11]// 000000009A48: D3F30008 1C223542
	s_add_u32 s60, 0x100, s80                                  // 000000009A50: 803C50FF 00000100
	s_cmp_lt_u32 s60, s81                                      // 000000009A58: BF0A513C
	s_cselect_b32 s58, s58, 0                                  // 000000009A5C: 853A803A
	v_mfma_f32_16x16x32_fp8_fp8 v[8:11], a[68:69], a[28:29], v[8:11]// 000000009A60: D3F30008 1C223944
	s_add_u32 s60, 0x100, s80                                  // 000000009A68: 803C50FF 00000100
	s_cmp_lt_u32 s60, s81                                      // 000000009A70: BF0A513C
	s_cselect_b32 s83, s83, 0                                  // 000000009A74: 85538053
	s_cselect_b32 s4, s4, 0                                    // 000000009A78: 85048004
	v_mfma_f32_16x16x32_fp8_fp8 v[8:11], a[70:71], a[30:31], v[8:11]// 000000009A7C: D3F30008 1C223D46
	s_add_u32 s24, s58, s24                                    // 000000009A84: 8018183A
	s_addc_u32 s25, 0, s25                                     // 000000009A88: 82191980
	v_fma_f32 v112, v12, v4, v112                              // 000000009A8C: D1CB0070 05C2090C
	v_fma_f32 v113, v13, v4, v113                              // 000000009A94: D1CB0071 05C6090D
	v_fma_f32 v114, v14, v4, v114                              // 000000009A9C: D1CB0072 05CA090E
	v_fma_f32 v115, v15, v4, v115                              // 000000009AA4: D1CB0073 05CE090F
	v_mfma_f32_16x16x32_fp8_fp8 v[12:15], a[72:73], a[24:25], 0// 000000009AAC: D3F3000C 1A023148
	s_add_u32 s20, s57, s20                                    // 000000009AB4: 80141439
	s_addc_u32 s21, 0, s21                                     // 000000009AB8: 82151580
	s_add_u32 s28, s3, s28                                     // 000000009ABC: 801C1C03
	s_addc_u32 s29, 0, s29                                     // 000000009AC0: 821D1D80
	v_mfma_f32_16x16x32_fp8_fp8 v[12:15], a[74:75], a[26:27], v[12:15]// 000000009AC4: D3F3000C 1C32354A
	s_add_u32 s84, s83, s84                                    // 000000009ACC: 80545453
	s_addc_u32 s85, 0, s85                                     // 000000009AD0: 82555580
	v_mfma_f32_16x16x32_fp8_fp8 v[12:15], a[76:77], a[28:29], v[12:15]// 000000009AD4: D3F3000C 1C32394C
	s_add_u32 s32, s4, s32                                     // 000000009ADC: 80202004
	s_addc_u32 s33, 0, s33                                     // 000000009AE0: 82212180
	v_mfma_f32_16x16x32_fp8_fp8 v[12:15], a[78:79], a[30:31], v[12:15]// 000000009AE4: D3F3000C 1C323D4E
	v_fma_f32 v100, v8, v6, v100                               // 000000009AEC: D1CB0064 05920D08
	v_fma_f32 v101, v9, v6, v101                               // 000000009AF4: D1CB0065 05960D09
	v_fma_f32 v102, v10, v6, v102                              // 000000009AFC: D1CB0066 059A0D0A
	v_fma_f32 v103, v11, v6, v103                              // 000000009B04: D1CB0067 059E0D0B
	v_fma_f32 v116, v12, v6, v116                              // 000000009B0C: D1CB0074 05D20D0C
	v_fma_f32 v117, v13, v6, v117                              // 000000009B14: D1CB0075 05D60D0D
	v_fma_f32 v118, v14, v6, v118                              // 000000009B1C: D1CB0076 05DA0D0E
	v_fma_f32 v119, v15, v6, v119                              // 000000009B24: D1CB0077 05DE0D0F
	s_addk_i32 s80, 0x80                                       // 000000009B2C: B7500080
	s_cmp_lt_i32 s80, s81                                      // 000000009B30: BF045150
	s_cbranch_scc0 label_1DCB                                  // 000000009B34: BF84017A
	s_waitcnt vmcnt(17) lgkmcnt(0)                             // 000000009B38: BF8C4071
	v_mul_f32_dpp v4, v26, v42 row_newbcast:0 row_mask:0xf bank_mask:0xf// 000000009B3C: 0A0854FA FF01501A
	v_mfma_f32_16x16x32_fp8_fp8 v[8:11], a[80:81], a[32:33], 0 // 000000009B44: D3F30008 1A024150
	buffer_load_dword v24, v22, s[32:35], 0 offen              // 000000009B4C: E0501000 80081816
	buffer_load_dwordx4 a[64:67], v54, s[24:27], 0 offen       // 000000009B54: E05C1000 80864036
	v_mfma_f32_16x16x32_fp8_fp8 v[8:11], a[82:83], a[34:35], v[8:11]// 000000009B5C: D3F30008 1C224552
	v_mfma_f32_16x16x32_fp8_fp8 v[8:11], a[84:85], a[36:37], v[8:11]// 000000009B64: D3F30008 1C224954
	v_mfma_f32_16x16x32_fp8_fp8 v[8:11], a[86:87], a[38:39], v[8:11]// 000000009B6C: D3F30008 1C224D56
	v_mfma_f32_16x16x32_fp8_fp8 v[12:15], a[88:89], a[32:33], 0// 000000009B74: D3F3000C 1A024158
	buffer_load_dwordx4 a[68:71], v54, s[24:27], 0 offen offset:1024// 000000009B7C: E05C1400 80864436
	v_mfma_f32_16x16x32_fp8_fp8 v[12:15], a[90:91], a[34:35], v[12:15]// 000000009B84: D3F3000C 1C32455A
	v_mfma_f32_16x16x32_fp8_fp8 v[12:15], a[92:93], a[36:37], v[12:15]// 000000009B8C: D3F3000C 1C32495C
	v_mfma_f32_16x16x32_fp8_fp8 v[12:15], a[94:95], a[38:39], v[12:15]// 000000009B94: D3F3000C 1C324D5E
	v_fma_f32 v56, v8, v4, v56                                 // 000000009B9C: D1CB0038 04E20908
	v_fma_f32 v57, v9, v4, v57                                 // 000000009BA4: D1CB0039 04E60909
	v_fma_f32 v58, v10, v4, v58                                // 000000009BAC: D1CB003A 04EA090A
	v_fma_f32 v59, v11, v4, v59                                // 000000009BB4: D1CB003B 04EE090B
	v_mul_f32_dpp v6, v26, v43 row_newbcast:0 row_mask:0xf bank_mask:0xf// 000000009BBC: 0A0C56FA FF01501A
	v_mfma_f32_16x16x32_fp8_fp8 v[8:11], a[80:81], a[40:41], 0 // 000000009BC4: D3F30008 1A025150
	buffer_load_dwordx4 a[72:75], v55, s[24:27], 0 offen       // 000000009BCC: E05C1000 80864837
	v_mfma_f32_16x16x32_fp8_fp8 v[8:11], a[82:83], a[42:43], v[8:11]// 000000009BD4: D3F30008 1C225552
	v_mfma_f32_16x16x32_fp8_fp8 v[8:11], a[84:85], a[44:45], v[8:11]// 000000009BDC: D3F30008 1C225954
	v_mfma_f32_16x16x32_fp8_fp8 v[8:11], a[86:87], a[46:47], v[8:11]// 000000009BE4: D3F30008 1C225D56
	v_fma_f32 v72, v12, v4, v72                                // 000000009BEC: D1CB0048 0522090C
	v_fma_f32 v73, v13, v4, v73                                // 000000009BF4: D1CB0049 0526090D
	v_fma_f32 v74, v14, v4, v74                                // 000000009BFC: D1CB004A 052A090E
	v_fma_f32 v75, v15, v4, v75                                // 000000009C04: D1CB004B 052E090F
	v_mfma_f32_16x16x32_fp8_fp8 v[12:15], a[88:89], a[40:41], 0// 000000009C0C: D3F3000C 1A025158
	buffer_load_dwordx4 a[76:79], v55, s[24:27], 0 offen offset:1024// 000000009C14: E05C1400 80864C37
	buffer_load_dword v46, s[20:23], 0 offen lds               // 000000009C1C: E0511000 8005002E
	s_add_u32 m0, 0x100, s49                                   // 000000009C24: 807C31FF 00000100
	v_mfma_f32_16x16x32_fp8_fp8 v[12:15], a[90:91], a[42:43], v[12:15]// 000000009C2C: D3F3000C 1C32555A
	v_mfma_f32_16x16x32_fp8_fp8 v[12:15], a[92:93], a[44:45], v[12:15]// 000000009C34: D3F3000C 1C32595C
	buffer_load_dword v47, s[20:23], 0 offen lds               // 000000009C3C: E0511000 8005002F
	s_add_u32 m0, 0x200, s49                                   // 000000009C44: 807C31FF 00000200
	v_mfma_f32_16x16x32_fp8_fp8 v[12:15], a[94:95], a[46:47], v[12:15]// 000000009C4C: D3F3000C 1C325D5E
	v_fma_f32 v60, v8, v6, v60                                 // 000000009C54: D1CB003C 04F20D08
	v_fma_f32 v61, v9, v6, v61                                 // 000000009C5C: D1CB003D 04F60D09
	v_fma_f32 v62, v10, v6, v62                                // 000000009C64: D1CB003E 04FA0D0A
	v_fma_f32 v63, v11, v6, v63                                // 000000009C6C: D1CB003F 04FE0D0B
	v_mul_f32_dpp v4, v26, v44 row_newbcast:0 row_mask:0xf bank_mask:0xf// 000000009C74: 0A0858FA FF01501A
	v_mfma_f32_16x16x32_fp8_fp8 v[8:11], a[80:81], a[48:49], 0 // 000000009C7C: D3F30008 1A026150
	buffer_load_dword v48, s[20:23], 0 offen lds               // 000000009C84: E0511000 80050030
	s_add_u32 m0, 0x300, s49                                   // 000000009C8C: 807C31FF 00000300
	v_mfma_f32_16x16x32_fp8_fp8 v[8:11], a[82:83], a[50:51], v[8:11]// 000000009C94: D3F30008 1C226552
	v_mfma_f32_16x16x32_fp8_fp8 v[8:11], a[84:85], a[52:53], v[8:11]// 000000009C9C: D3F30008 1C226954
	buffer_load_dword v49, s[20:23], 0 offen lds               // 000000009CA4: E0511000 80050031
	s_add_u32 m0, 0x400, s49                                   // 000000009CAC: 807C31FF 00000400
	v_mfma_f32_16x16x32_fp8_fp8 v[8:11], a[86:87], a[54:55], v[8:11]// 000000009CB4: D3F30008 1C226D56
	v_fma_f32 v76, v12, v6, v76                                // 000000009CBC: D1CB004C 05320D0C
	v_fma_f32 v77, v13, v6, v77                                // 000000009CC4: D1CB004D 05360D0D
	v_fma_f32 v78, v14, v6, v78                                // 000000009CCC: D1CB004E 053A0D0E
	v_fma_f32 v79, v15, v6, v79                                // 000000009CD4: D1CB004F 053E0D0F
	v_mfma_f32_16x16x32_fp8_fp8 v[12:15], a[88:89], a[48:49], 0// 000000009CDC: D3F3000C 1A026158
	buffer_load_dword v50, s[20:23], 0 offen lds               // 000000009CE4: E0511000 80050032
	s_add_u32 m0, 0x500, s49                                   // 000000009CEC: 807C31FF 00000500
	v_mfma_f32_16x16x32_fp8_fp8 v[12:15], a[90:91], a[50:51], v[12:15]// 000000009CF4: D3F3000C 1C32655A
	v_mfma_f32_16x16x32_fp8_fp8 v[12:15], a[92:93], a[52:53], v[12:15]// 000000009CFC: D3F3000C 1C32695C
	buffer_load_dword v51, s[20:23], 0 offen lds               // 000000009D04: E0511000 80050033
	s_add_u32 m0, 0x600, s49                                   // 000000009D0C: 807C31FF 00000600
	v_mfma_f32_16x16x32_fp8_fp8 v[12:15], a[94:95], a[54:55], v[12:15]// 000000009D14: D3F3000C 1C326D5E
	v_fma_f32 v64, v8, v4, v64                                 // 000000009D1C: D1CB0040 05020908
	v_fma_f32 v65, v9, v4, v65                                 // 000000009D24: D1CB0041 05060909
	v_fma_f32 v66, v10, v4, v66                                // 000000009D2C: D1CB0042 050A090A
	v_fma_f32 v67, v11, v4, v67                                // 000000009D34: D1CB0043 050E090B
	v_mul_f32_dpp v6, v26, v45 row_newbcast:0 row_mask:0xf bank_mask:0xf// 000000009D3C: 0A0C5AFA FF01501A
	v_mfma_f32_16x16x32_fp8_fp8 v[8:11], a[80:81], a[56:57], 0 // 000000009D44: D3F30008 1A027150
	buffer_load_dword v52, s[20:23], 0 offen lds               // 000000009D4C: E0511000 80050034
	s_add_u32 m0, 0x700, s49                                   // 000000009D54: 807C31FF 00000700
	v_mfma_f32_16x16x32_fp8_fp8 v[8:11], a[82:83], a[58:59], v[8:11]// 000000009D5C: D3F30008 1C227552
	v_mfma_f32_16x16x32_fp8_fp8 v[8:11], a[84:85], a[60:61], v[8:11]// 000000009D64: D3F30008 1C227954
	buffer_load_dword v53, s[20:23], 0 offen lds               // 000000009D6C: E0511000 80050035
	s_add_u32 m0, 0, s50                                       // 000000009D74: 807C3280
	v_mfma_f32_16x16x32_fp8_fp8 v[8:11], a[86:87], a[62:63], v[8:11]// 000000009D78: D3F30008 1C227D56
	v_fma_f32 v80, v12, v4, v80                                // 000000009D80: D1CB0050 0542090C
	v_fma_f32 v81, v13, v4, v81                                // 000000009D88: D1CB0051 0546090D
	v_fma_f32 v82, v14, v4, v82                                // 000000009D90: D1CB0052 054A090E
	v_fma_f32 v83, v15, v4, v83                                // 000000009D98: D1CB0053 054E090F
	v_mfma_f32_16x16x32_fp8_fp8 v[12:15], a[88:89], a[56:57], 0// 000000009DA0: D3F3000C 1A027158
	buffer_load_dword v38, v30, s[28:31], 0 offen              // 000000009DA8: E0501000 8007261E
	v_mfma_f32_16x16x32_fp8_fp8 v[12:15], a[90:91], a[58:59], v[12:15]// 000000009DB0: D3F3000C 1C32755A
	v_mfma_f32_16x16x32_fp8_fp8 v[12:15], a[92:93], a[60:61], v[12:15]// 000000009DB8: D3F3000C 1C32795C
	buffer_load_dword v39, v31, s[28:31], 0 offen              // 000000009DC0: E0501000 8007271F
	v_mfma_f32_16x16x32_fp8_fp8 v[12:15], a[94:95], a[62:63], v[12:15]// 000000009DC8: D3F3000C 1C327D5E
	v_fma_f32 v68, v8, v6, v68                                 // 000000009DD0: D1CB0044 05120D08
	v_fma_f32 v69, v9, v6, v69                                 // 000000009DD8: D1CB0045 05160D09
	v_fma_f32 v70, v10, v6, v70                                // 000000009DE0: D1CB0046 051A0D0A
	v_fma_f32 v71, v11, v6, v71                                // 000000009DE8: D1CB0047 051E0D0B
	v_fma_f32 v84, v12, v6, v84                                // 000000009DF0: D1CB0054 05520D0C
	v_fma_f32 v85, v13, v6, v85                                // 000000009DF8: D1CB0055 05560D0D
	v_fma_f32 v86, v14, v6, v86                                // 000000009E00: D1CB0056 055A0D0E
	v_fma_f32 v87, v15, v6, v87                                // 000000009E08: D1CB0057 055E0D0F
	buffer_load_dword v40, v32, s[28:31], 0 offen              // 000000009E10: E0501000 80072820
	buffer_load_dword v41, v33, s[28:31], 0 offen              // 000000009E18: E0501000 80072921
	s_waitcnt vmcnt(17)                                        // 000000009E20: BF8C4F71
	s_barrier                                                  // 000000009E24: BF8A0000
	v_mul_f32_dpp v4, v29, v42 row_newbcast:0 row_mask:0xf bank_mask:0xf// 000000009E28: 0A0854FA FF01501D
	v_mfma_f32_16x16x32_fp8_fp8 v[8:11], a[96:97], a[32:33], 0 // 000000009E30: D3F30008 1A024160
	buffer_load_dword v27, v23, s[32:35], 0 offen              // 000000009E38: E0501000 80081B17
	buffer_load_dwordx4 a[80:83], v54, s[84:87], 0 offen       // 000000009E40: E05C1000 80955036
	v_mfma_f32_16x16x32_fp8_fp8 v[8:11], a[98:99], a[34:35], v[8:11]// 000000009E48: D3F30008 1C224562
	v_mfma_f32_16x16x32_fp8_fp8 v[8:11], a[100:101], a[36:37], v[8:11]// 000000009E50: D3F30008 1C224964
	ds_read_b128 a[0:3], v2                                    // 000000009E58: DBFE0000 00000002
	ds_read_b128 a[4:7], v2 offset:64                          // 000000009E60: DBFE0040 04000002
	v_mfma_f32_16x16x32_fp8_fp8 v[8:11], a[102:103], a[38:39], v[8:11]// 000000009E68: D3F30008 1C224D66
	v_mfma_f32_16x16x32_fp8_fp8 v[12:15], a[104:105], a[32:33], 0// 000000009E70: D3F3000C 1A024168
	buffer_load_dwordx4 a[84:87], v54, s[84:87], 0 offen offset:1024// 000000009E78: E05C1400 80955436
	v_mfma_f32_16x16x32_fp8_fp8 v[12:15], a[106:107], a[34:35], v[12:15]// 000000009E80: D3F3000C 1C32456A
	v_mfma_f32_16x16x32_fp8_fp8 v[12:15], a[108:109], a[36:37], v[12:15]// 000000009E88: D3F3000C 1C32496C
	ds_read_b128 a[8:11], v2 offset:512                        // 000000009E90: DBFE0200 08000002
	ds_read_b128 a[12:15], v2 offset:576                       // 000000009E98: DBFE0240 0C000002
	v_mfma_f32_16x16x32_fp8_fp8 v[12:15], a[110:111], a[38:39], v[12:15]// 000000009EA0: D3F3000C 1C324D6E
	v_fma_f32 v88, v8, v4, v88                                 // 000000009EA8: D1CB0058 05620908
	v_fma_f32 v89, v9, v4, v89                                 // 000000009EB0: D1CB0059 05660909
	v_fma_f32 v90, v10, v4, v90                                // 000000009EB8: D1CB005A 056A090A
	v_fma_f32 v91, v11, v4, v91                                // 000000009EC0: D1CB005B 056E090B
	v_mul_f32_dpp v6, v29, v43 row_newbcast:0 row_mask:0xf bank_mask:0xf// 000000009EC8: 0A0C56FA FF01501D
	v_mfma_f32_16x16x32_fp8_fp8 v[8:11], a[96:97], a[40:41], 0 // 000000009ED0: D3F30008 1A025160
	buffer_load_dwordx4 a[88:91], v55, s[84:87], 0 offen       // 000000009ED8: E05C1000 80955837
	v_mfma_f32_16x16x32_fp8_fp8 v[8:11], a[98:99], a[42:43], v[8:11]// 000000009EE0: D3F30008 1C225562
	v_mfma_f32_16x16x32_fp8_fp8 v[8:11], a[100:101], a[44:45], v[8:11]// 000000009EE8: D3F30008 1C225964
	ds_read_b128 a[16:19], v2 offset:1024                      // 000000009EF0: DBFE0400 10000002
	ds_read_b128 a[20:23], v2 offset:1088                      // 000000009EF8: DBFE0440 14000002
	v_mfma_f32_16x16x32_fp8_fp8 v[8:11], a[102:103], a[46:47], v[8:11]// 000000009F00: D3F30008 1C225D66
	v_fma_f32 v104, v12, v4, v104                              // 000000009F08: D1CB0068 05A2090C
	v_fma_f32 v105, v13, v4, v105                              // 000000009F10: D1CB0069 05A6090D
	v_fma_f32 v106, v14, v4, v106                              // 000000009F18: D1CB006A 05AA090E
	v_fma_f32 v107, v15, v4, v107                              // 000000009F20: D1CB006B 05AE090F
	v_mfma_f32_16x16x32_fp8_fp8 v[12:15], a[104:105], a[40:41], 0// 000000009F28: D3F3000C 1A025168
	buffer_load_dwordx4 a[92:95], v55, s[84:87], 0 offen offset:1024// 000000009F30: E05C1400 80955C37
	v_mfma_f32_16x16x32_fp8_fp8 v[12:15], a[106:107], a[42:43], v[12:15]// 000000009F38: D3F3000C 1C32556A
	v_mfma_f32_16x16x32_fp8_fp8 v[12:15], a[108:109], a[44:45], v[12:15]// 000000009F40: D3F3000C 1C32596C
	ds_read_b128 a[24:27], v2 offset:1536                      // 000000009F48: DBFE0600 18000002
	ds_read_b128 a[28:31], v2 offset:1600                      // 000000009F50: DBFE0640 1C000002
	v_mfma_f32_16x16x32_fp8_fp8 v[12:15], a[110:111], a[46:47], v[12:15]// 000000009F58: D3F3000C 1C325D6E
	v_fma_f32 v92, v8, v6, v92                                 // 000000009F60: D1CB005C 05720D08
	v_fma_f32 v93, v9, v6, v93                                 // 000000009F68: D1CB005D 05760D09
	v_fma_f32 v94, v10, v6, v94                                // 000000009F70: D1CB005E 057A0D0A
	v_fma_f32 v95, v11, v6, v95                                // 000000009F78: D1CB005F 057E0D0B
	v_mul_f32_dpp v4, v29, v44 row_newbcast:0 row_mask:0xf bank_mask:0xf// 000000009F80: 0A0858FA FF01501D
	v_mfma_f32_16x16x32_fp8_fp8 v[8:11], a[96:97], a[48:49], 0 // 000000009F88: D3F30008 1A026160
	v_mfma_f32_16x16x32_fp8_fp8 v[8:11], a[98:99], a[50:51], v[8:11]// 000000009F90: D3F30008 1C226562
	v_mfma_f32_16x16x32_fp8_fp8 v[8:11], a[100:101], a[52:53], v[8:11]// 000000009F98: D3F30008 1C226964
	v_mfma_f32_16x16x32_fp8_fp8 v[8:11], a[102:103], a[54:55], v[8:11]// 000000009FA0: D3F30008 1C226D66
	v_fma_f32 v108, v12, v6, v108                              // 000000009FA8: D1CB006C 05B20D0C
	v_fma_f32 v109, v13, v6, v109                              // 000000009FB0: D1CB006D 05B60D0D
	v_fma_f32 v110, v14, v6, v110                              // 000000009FB8: D1CB006E 05BA0D0E
	v_fma_f32 v111, v15, v6, v111                              // 000000009FC0: D1CB006F 05BE0D0F
	v_mfma_f32_16x16x32_fp8_fp8 v[12:15], a[104:105], a[48:49], 0// 000000009FC8: D3F3000C 1A026168
	v_mfma_f32_16x16x32_fp8_fp8 v[12:15], a[106:107], a[50:51], v[12:15]// 000000009FD0: D3F3000C 1C32656A
	v_mfma_f32_16x16x32_fp8_fp8 v[12:15], a[108:109], a[52:53], v[12:15]// 000000009FD8: D3F3000C 1C32696C
	v_mfma_f32_16x16x32_fp8_fp8 v[12:15], a[110:111], a[54:55], v[12:15]// 000000009FE0: D3F3000C 1C326D6E
	v_fma_f32 v96, v8, v4, v96                                 // 000000009FE8: D1CB0060 05820908
	v_fma_f32 v97, v9, v4, v97                                 // 000000009FF0: D1CB0061 05860909
	v_fma_f32 v98, v10, v4, v98                                // 000000009FF8: D1CB0062 058A090A
	v_fma_f32 v99, v11, v4, v99                                // 00000000A000: D1CB0063 058E090B
	v_mul_f32_dpp v6, v29, v45 row_newbcast:0 row_mask:0xf bank_mask:0xf// 00000000A008: 0A0C5AFA FF01501D
	v_mfma_f32_16x16x32_fp8_fp8 v[8:11], a[96:97], a[56:57], 0 // 00000000A010: D3F30008 1A027160
	s_add_u32 s60, 0x180, s80                                  // 00000000A018: 803C50FF 00000180
	s_cmp_lt_u32 s60, s81                                      // 00000000A020: BF0A513C
	s_cselect_b32 s57, s57, 0                                  // 00000000A024: 85398039
	s_cselect_b32 s3, s3, 0                                    // 00000000A028: 85038003
	v_mfma_f32_16x16x32_fp8_fp8 v[8:11], a[98:99], a[58:59], v[8:11]// 00000000A02C: D3F30008 1C227562
	s_add_u32 s60, 0x100, s80                                  // 00000000A034: 803C50FF 00000100
	s_cmp_lt_u32 s60, s81                                      // 00000000A03C: BF0A513C
	s_cselect_b32 s58, s58, 0                                  // 00000000A040: 853A803A
	v_mfma_f32_16x16x32_fp8_fp8 v[8:11], a[100:101], a[60:61], v[8:11]// 00000000A044: D3F30008 1C227964
	s_add_u32 s60, 0x100, s80                                  // 00000000A04C: 803C50FF 00000100
	s_cmp_lt_u32 s60, s81                                      // 00000000A054: BF0A513C
	s_cselect_b32 s83, s83, 0                                  // 00000000A058: 85538053
	s_cselect_b32 s4, s4, 0                                    // 00000000A05C: 85048004
	v_mfma_f32_16x16x32_fp8_fp8 v[8:11], a[102:103], a[62:63], v[8:11]// 00000000A060: D3F30008 1C227D66
	s_add_u32 s24, s58, s24                                    // 00000000A068: 8018183A
	s_addc_u32 s25, 0, s25                                     // 00000000A06C: 82191980
	v_fma_f32 v112, v12, v4, v112                              // 00000000A070: D1CB0070 05C2090C
	v_fma_f32 v113, v13, v4, v113                              // 00000000A078: D1CB0071 05C6090D
	v_fma_f32 v114, v14, v4, v114                              // 00000000A080: D1CB0072 05CA090E
	v_fma_f32 v115, v15, v4, v115                              // 00000000A088: D1CB0073 05CE090F
	v_mfma_f32_16x16x32_fp8_fp8 v[12:15], a[104:105], a[56:57], 0// 00000000A090: D3F3000C 1A027168
	s_add_u32 s20, s57, s20                                    // 00000000A098: 80141439
	s_addc_u32 s21, 0, s21                                     // 00000000A09C: 82151580
	s_add_u32 s28, s3, s28                                     // 00000000A0A0: 801C1C03
	s_addc_u32 s29, 0, s29                                     // 00000000A0A4: 821D1D80
	v_mfma_f32_16x16x32_fp8_fp8 v[12:15], a[106:107], a[58:59], v[12:15]// 00000000A0A8: D3F3000C 1C32756A
	s_add_u32 s84, s83, s84                                    // 00000000A0B0: 80545453
	s_addc_u32 s85, 0, s85                                     // 00000000A0B4: 82555580
	v_mfma_f32_16x16x32_fp8_fp8 v[12:15], a[108:109], a[60:61], v[12:15]// 00000000A0B8: D3F3000C 1C32796C
	s_add_u32 s32, s4, s32                                     // 00000000A0C0: 80202004
	s_addc_u32 s33, 0, s33                                     // 00000000A0C4: 82212180
	v_mfma_f32_16x16x32_fp8_fp8 v[12:15], a[110:111], a[62:63], v[12:15]// 00000000A0C8: D3F3000C 1C327D6E
	v_fma_f32 v100, v8, v6, v100                               // 00000000A0D0: D1CB0064 05920D08
	v_fma_f32 v101, v9, v6, v101                               // 00000000A0D8: D1CB0065 05960D09
	v_fma_f32 v102, v10, v6, v102                              // 00000000A0E0: D1CB0066 059A0D0A
	v_fma_f32 v103, v11, v6, v103                              // 00000000A0E8: D1CB0067 059E0D0B
	v_fma_f32 v116, v12, v6, v116                              // 00000000A0F0: D1CB0074 05D20D0C
	v_fma_f32 v117, v13, v6, v117                              // 00000000A0F8: D1CB0075 05D60D0D
	v_fma_f32 v118, v14, v6, v118                              // 00000000A100: D1CB0076 05DA0D0E
	v_fma_f32 v119, v15, v6, v119                              // 00000000A108: D1CB0077 05DE0D0F
	s_addk_i32 s80, 0x80                                       // 00000000A110: B7500080
	s_cmp_lt_i32 s80, s81                                      // 00000000A114: BF045150
	s_cbranch_scc0 label_1DCB                                  // 00000000A118: BF840001
	s_branch label_14F4                                        // 00000000A11C: BF82F729

000000000000a120 <label_1DCB>:
	s_cmp_eq_u32 s88, 0                                        // 00000000A120: BF068058
	s_cbranch_scc0 label_234C                                  // 00000000A124: BF84057F
	s_cmp_eq_u32 s89, 0                                        // 00000000A128: BF068059
	s_cbranch_scc1 label_1F14                                  // 00000000A12C: BF850145
	v_mov_b32_e32 v8, v1                                       // 00000000A130: 7E100301
	v_mov_b32_e32 v9, v1                                       // 00000000A134: 7E120301
	s_mov_b32 s60, s6                                          // 00000000A138: BEBC0006
	s_mov_b32 s61, s6                                          // 00000000A13C: BEBD0006
	v_pk_mul_f32 v[4:5], v[56:57], v[56:57]                    // 00000000A140: D3B14004 18027138
	v_pk_mul_f32 v[6:7], v[58:59], v[58:59]                    // 00000000A148: D3B14006 1802753A
	v_pk_fma_f32 v[4:5], v[4:5], s[78:79], v[8:9]              // 00000000A150: D3B04004 1C209D04
	v_pk_fma_f32 v[6:7], v[6:7], s[78:79], v[8:9]              // 00000000A158: D3B04006 1C209D06
	v_pk_mul_f32 v[4:5], v[4:5], v[56:57]                      // 00000000A160: D3B14004 18027104
	v_pk_mul_f32 v[6:7], v[6:7], v[58:59]                      // 00000000A168: D3B14006 18027506
	v_pk_mul_f32 v[4:5], v[4:5], s[60:61]                      // 00000000A170: D3B14004 18007904
	v_pk_mul_f32 v[6:7], v[6:7], s[60:61]                      // 00000000A178: D3B14006 18007906
	v_exp_f32_e32 v4, v4                                       // 00000000A180: 7E084104
	v_exp_f32_e32 v5, v5                                       // 00000000A184: 7E0A4105
	v_exp_f32_e32 v6, v6                                       // 00000000A188: 7E0C4106
	v_exp_f32_e32 v7, v7                                       // 00000000A18C: 7E0E4107
	v_add_f32_e64 v4, v4, 1.0                                  // 00000000A190: D1010004 0001E504
	v_add_f32_e64 v5, v5, 1.0                                  // 00000000A198: D1010005 0001E505
	v_add_f32_e64 v6, v6, 1.0                                  // 00000000A1A0: D1010006 0001E506
	v_add_f32_e64 v7, v7, 1.0                                  // 00000000A1A8: D1010007 0001E507
	v_rcp_f32_e32 v4, v4                                       // 00000000A1B0: 7E084504
	v_rcp_f32_e32 v5, v5                                       // 00000000A1B4: 7E0A4505
	v_rcp_f32_e32 v6, v6                                       // 00000000A1B8: 7E0C4506
	v_rcp_f32_e32 v7, v7                                       // 00000000A1BC: 7E0E4507
	v_mul_f32_e32 v56, v56, v4                                 // 00000000A1C0: 0A700938
	v_mul_f32_e32 v57, v57, v5                                 // 00000000A1C4: 0A720B39
	v_mul_f32_e32 v58, v58, v6                                 // 00000000A1C8: 0A740D3A
	v_mul_f32_e32 v59, v59, v7                                 // 00000000A1CC: 0A760F3B
	v_mul_f32_e32 v56, v56, v88                                // 00000000A1D0: 0A70B138
	v_mul_f32_e32 v57, v57, v89                                // 00000000A1D4: 0A72B339
	v_mul_f32_e32 v58, v58, v90                                // 00000000A1D8: 0A74B53A
	v_mul_f32_e32 v59, v59, v91                                // 00000000A1DC: 0A76B73B
	v_pk_mul_f32 v[4:5], v[60:61], v[60:61]                    // 00000000A1E0: D3B14004 1802793C
	v_pk_mul_f32 v[6:7], v[62:63], v[62:63]                    // 00000000A1E8: D3B14006 18027D3E
	v_pk_fma_f32 v[4:5], v[4:5], s[78:79], v[8:9]              // 00000000A1F0: D3B04004 1C209D04
	v_pk_fma_f32 v[6:7], v[6:7], s[78:79], v[8:9]              // 00000000A1F8: D3B04006 1C209D06
	v_pk_mul_f32 v[4:5], v[4:5], v[60:61]                      // 00000000A200: D3B14004 18027904
	v_pk_mul_f32 v[6:7], v[6:7], v[62:63]                      // 00000000A208: D3B14006 18027D06
	v_pk_mul_f32 v[4:5], v[4:5], s[60:61]                      // 00000000A210: D3B14004 18007904
	v_pk_mul_f32 v[6:7], v[6:7], s[60:61]                      // 00000000A218: D3B14006 18007906
	v_exp_f32_e32 v4, v4                                       // 00000000A220: 7E084104
	v_exp_f32_e32 v5, v5                                       // 00000000A224: 7E0A4105
	v_exp_f32_e32 v6, v6                                       // 00000000A228: 7E0C4106
	v_exp_f32_e32 v7, v7                                       // 00000000A22C: 7E0E4107
	v_add_f32_e64 v4, v4, 1.0                                  // 00000000A230: D1010004 0001E504
	v_add_f32_e64 v5, v5, 1.0                                  // 00000000A238: D1010005 0001E505
	v_add_f32_e64 v6, v6, 1.0                                  // 00000000A240: D1010006 0001E506
	v_add_f32_e64 v7, v7, 1.0                                  // 00000000A248: D1010007 0001E507
	v_rcp_f32_e32 v4, v4                                       // 00000000A250: 7E084504
	v_rcp_f32_e32 v5, v5                                       // 00000000A254: 7E0A4505
	v_rcp_f32_e32 v6, v6                                       // 00000000A258: 7E0C4506
	v_rcp_f32_e32 v7, v7                                       // 00000000A25C: 7E0E4507
	v_mul_f32_e32 v60, v60, v4                                 // 00000000A260: 0A78093C
	v_mul_f32_e32 v61, v61, v5                                 // 00000000A264: 0A7A0B3D
	v_mul_f32_e32 v62, v62, v6                                 // 00000000A268: 0A7C0D3E
	v_mul_f32_e32 v63, v63, v7                                 // 00000000A26C: 0A7E0F3F
	v_mul_f32_e32 v60, v60, v92                                // 00000000A270: 0A78B93C
	v_mul_f32_e32 v61, v61, v93                                // 00000000A274: 0A7ABB3D
	v_mul_f32_e32 v62, v62, v94                                // 00000000A278: 0A7CBD3E
	v_mul_f32_e32 v63, v63, v95                                // 00000000A27C: 0A7EBF3F
	v_pk_mul_f32 v[4:5], v[64:65], v[64:65]                    // 00000000A280: D3B14004 18028140
	v_pk_mul_f32 v[6:7], v[66:67], v[66:67]                    // 00000000A288: D3B14006 18028542
	v_pk_fma_f32 v[4:5], v[4:5], s[78:79], v[8:9]              // 00000000A290: D3B04004 1C209D04
	v_pk_fma_f32 v[6:7], v[6:7], s[78:79], v[8:9]              // 00000000A298: D3B04006 1C209D06
	v_pk_mul_f32 v[4:5], v[4:5], v[64:65]                      // 00000000A2A0: D3B14004 18028104
	v_pk_mul_f32 v[6:7], v[6:7], v[66:67]                      // 00000000A2A8: D3B14006 18028506
	v_pk_mul_f32 v[4:5], v[4:5], s[60:61]                      // 00000000A2B0: D3B14004 18007904
	v_pk_mul_f32 v[6:7], v[6:7], s[60:61]                      // 00000000A2B8: D3B14006 18007906
	v_exp_f32_e32 v4, v4                                       // 00000000A2C0: 7E084104
	v_exp_f32_e32 v5, v5                                       // 00000000A2C4: 7E0A4105
	v_exp_f32_e32 v6, v6                                       // 00000000A2C8: 7E0C4106
	v_exp_f32_e32 v7, v7                                       // 00000000A2CC: 7E0E4107
	v_add_f32_e64 v4, v4, 1.0                                  // 00000000A2D0: D1010004 0001E504
	v_add_f32_e64 v5, v5, 1.0                                  // 00000000A2D8: D1010005 0001E505
	v_add_f32_e64 v6, v6, 1.0                                  // 00000000A2E0: D1010006 0001E506
	v_add_f32_e64 v7, v7, 1.0                                  // 00000000A2E8: D1010007 0001E507
	v_rcp_f32_e32 v4, v4                                       // 00000000A2F0: 7E084504
	v_rcp_f32_e32 v5, v5                                       // 00000000A2F4: 7E0A4505
	v_rcp_f32_e32 v6, v6                                       // 00000000A2F8: 7E0C4506
	v_rcp_f32_e32 v7, v7                                       // 00000000A2FC: 7E0E4507
	v_mul_f32_e32 v64, v64, v4                                 // 00000000A300: 0A800940
	v_mul_f32_e32 v65, v65, v5                                 // 00000000A304: 0A820B41
	v_mul_f32_e32 v66, v66, v6                                 // 00000000A308: 0A840D42
	v_mul_f32_e32 v67, v67, v7                                 // 00000000A30C: 0A860F43
	v_mul_f32_e32 v64, v64, v96                                // 00000000A310: 0A80C140
	v_mul_f32_e32 v65, v65, v97                                // 00000000A314: 0A82C341
	v_mul_f32_e32 v66, v66, v98                                // 00000000A318: 0A84C542
	v_mul_f32_e32 v67, v67, v99                                // 00000000A31C: 0A86C743
	v_pk_mul_f32 v[4:5], v[68:69], v[68:69]                    // 00000000A320: D3B14004 18028944
	v_pk_mul_f32 v[6:7], v[70:71], v[70:71]                    // 00000000A328: D3B14006 18028D46
	v_pk_fma_f32 v[4:5], v[4:5], s[78:79], v[8:9]              // 00000000A330: D3B04004 1C209D04
	v_pk_fma_f32 v[6:7], v[6:7], s[78:79], v[8:9]              // 00000000A338: D3B04006 1C209D06
	v_pk_mul_f32 v[4:5], v[4:5], v[68:69]                      // 00000000A340: D3B14004 18028904
	v_pk_mul_f32 v[6:7], v[6:7], v[70:71]                      // 00000000A348: D3B14006 18028D06
	v_pk_mul_f32 v[4:5], v[4:5], s[60:61]                      // 00000000A350: D3B14004 18007904
	v_pk_mul_f32 v[6:7], v[6:7], s[60:61]                      // 00000000A358: D3B14006 18007906
	v_exp_f32_e32 v4, v4                                       // 00000000A360: 7E084104
	v_exp_f32_e32 v5, v5                                       // 00000000A364: 7E0A4105
	v_exp_f32_e32 v6, v6                                       // 00000000A368: 7E0C4106
	v_exp_f32_e32 v7, v7                                       // 00000000A36C: 7E0E4107
	v_add_f32_e64 v4, v4, 1.0                                  // 00000000A370: D1010004 0001E504
	v_add_f32_e64 v5, v5, 1.0                                  // 00000000A378: D1010005 0001E505
	v_add_f32_e64 v6, v6, 1.0                                  // 00000000A380: D1010006 0001E506
	v_add_f32_e64 v7, v7, 1.0                                  // 00000000A388: D1010007 0001E507
	v_rcp_f32_e32 v4, v4                                       // 00000000A390: 7E084504
	v_rcp_f32_e32 v5, v5                                       // 00000000A394: 7E0A4505
	v_rcp_f32_e32 v6, v6                                       // 00000000A398: 7E0C4506
	v_rcp_f32_e32 v7, v7                                       // 00000000A39C: 7E0E4507
	v_mul_f32_e32 v68, v68, v4                                 // 00000000A3A0: 0A880944
	v_mul_f32_e32 v69, v69, v5                                 // 00000000A3A4: 0A8A0B45
	v_mul_f32_e32 v70, v70, v6                                 // 00000000A3A8: 0A8C0D46
	v_mul_f32_e32 v71, v71, v7                                 // 00000000A3AC: 0A8E0F47
	v_mul_f32_e32 v68, v68, v100                               // 00000000A3B0: 0A88C944
	v_mul_f32_e32 v69, v69, v101                               // 00000000A3B4: 0A8ACB45
	v_mul_f32_e32 v70, v70, v102                               // 00000000A3B8: 0A8CCD46
	v_mul_f32_e32 v71, v71, v103                               // 00000000A3BC: 0A8ECF47
	v_pk_mul_f32 v[4:5], v[72:73], v[72:73]                    // 00000000A3C0: D3B14004 18029148
	v_pk_mul_f32 v[6:7], v[74:75], v[74:75]                    // 00000000A3C8: D3B14006 1802954A
	v_pk_fma_f32 v[4:5], v[4:5], s[78:79], v[8:9]              // 00000000A3D0: D3B04004 1C209D04
	v_pk_fma_f32 v[6:7], v[6:7], s[78:79], v[8:9]              // 00000000A3D8: D3B04006 1C209D06
	v_pk_mul_f32 v[4:5], v[4:5], v[72:73]                      // 00000000A3E0: D3B14004 18029104
	v_pk_mul_f32 v[6:7], v[6:7], v[74:75]                      // 00000000A3E8: D3B14006 18029506
	v_pk_mul_f32 v[4:5], v[4:5], s[60:61]                      // 00000000A3F0: D3B14004 18007904
	v_pk_mul_f32 v[6:7], v[6:7], s[60:61]                      // 00000000A3F8: D3B14006 18007906
	v_exp_f32_e32 v4, v4                                       // 00000000A400: 7E084104
	v_exp_f32_e32 v5, v5                                       // 00000000A404: 7E0A4105
	v_exp_f32_e32 v6, v6                                       // 00000000A408: 7E0C4106
	v_exp_f32_e32 v7, v7                                       // 00000000A40C: 7E0E4107
	v_add_f32_e64 v4, v4, 1.0                                  // 00000000A410: D1010004 0001E504
	v_add_f32_e64 v5, v5, 1.0                                  // 00000000A418: D1010005 0001E505
	v_add_f32_e64 v6, v6, 1.0                                  // 00000000A420: D1010006 0001E506
	v_add_f32_e64 v7, v7, 1.0                                  // 00000000A428: D1010007 0001E507
	v_rcp_f32_e32 v4, v4                                       // 00000000A430: 7E084504
	v_rcp_f32_e32 v5, v5                                       // 00000000A434: 7E0A4505
	v_rcp_f32_e32 v6, v6                                       // 00000000A438: 7E0C4506
	v_rcp_f32_e32 v7, v7                                       // 00000000A43C: 7E0E4507
	v_mul_f32_e32 v72, v72, v4                                 // 00000000A440: 0A900948
	v_mul_f32_e32 v73, v73, v5                                 // 00000000A444: 0A920B49
	v_mul_f32_e32 v74, v74, v6                                 // 00000000A448: 0A940D4A
	v_mul_f32_e32 v75, v75, v7                                 // 00000000A44C: 0A960F4B
	v_mul_f32_e32 v72, v72, v104                               // 00000000A450: 0A90D148
	v_mul_f32_e32 v73, v73, v105                               // 00000000A454: 0A92D349
	v_mul_f32_e32 v74, v74, v106                               // 00000000A458: 0A94D54A
	v_mul_f32_e32 v75, v75, v107                               // 00000000A45C: 0A96D74B
	v_pk_mul_f32 v[4:5], v[76:77], v[76:77]                    // 00000000A460: D3B14004 1802994C
	v_pk_mul_f32 v[6:7], v[78:79], v[78:79]                    // 00000000A468: D3B14006 18029D4E
	v_pk_fma_f32 v[4:5], v[4:5], s[78:79], v[8:9]              // 00000000A470: D3B04004 1C209D04
	v_pk_fma_f32 v[6:7], v[6:7], s[78:79], v[8:9]              // 00000000A478: D3B04006 1C209D06
	v_pk_mul_f32 v[4:5], v[4:5], v[76:77]                      // 00000000A480: D3B14004 18029904
	v_pk_mul_f32 v[6:7], v[6:7], v[78:79]                      // 00000000A488: D3B14006 18029D06
	v_pk_mul_f32 v[4:5], v[4:5], s[60:61]                      // 00000000A490: D3B14004 18007904
	v_pk_mul_f32 v[6:7], v[6:7], s[60:61]                      // 00000000A498: D3B14006 18007906
	v_exp_f32_e32 v4, v4                                       // 00000000A4A0: 7E084104
	v_exp_f32_e32 v5, v5                                       // 00000000A4A4: 7E0A4105
	v_exp_f32_e32 v6, v6                                       // 00000000A4A8: 7E0C4106
	v_exp_f32_e32 v7, v7                                       // 00000000A4AC: 7E0E4107
	v_add_f32_e64 v4, v4, 1.0                                  // 00000000A4B0: D1010004 0001E504
	v_add_f32_e64 v5, v5, 1.0                                  // 00000000A4B8: D1010005 0001E505
	v_add_f32_e64 v6, v6, 1.0                                  // 00000000A4C0: D1010006 0001E506
	v_add_f32_e64 v7, v7, 1.0                                  // 00000000A4C8: D1010007 0001E507
	v_rcp_f32_e32 v4, v4                                       // 00000000A4D0: 7E084504
	v_rcp_f32_e32 v5, v5                                       // 00000000A4D4: 7E0A4505
	v_rcp_f32_e32 v6, v6                                       // 00000000A4D8: 7E0C4506
	v_rcp_f32_e32 v7, v7                                       // 00000000A4DC: 7E0E4507
	v_mul_f32_e32 v76, v76, v4                                 // 00000000A4E0: 0A98094C
	v_mul_f32_e32 v77, v77, v5                                 // 00000000A4E4: 0A9A0B4D
	v_mul_f32_e32 v78, v78, v6                                 // 00000000A4E8: 0A9C0D4E
	v_mul_f32_e32 v79, v79, v7                                 // 00000000A4EC: 0A9E0F4F
	v_mul_f32_e32 v76, v76, v108                               // 00000000A4F0: 0A98D94C
	v_mul_f32_e32 v77, v77, v109                               // 00000000A4F4: 0A9ADB4D
	v_mul_f32_e32 v78, v78, v110                               // 00000000A4F8: 0A9CDD4E
	v_mul_f32_e32 v79, v79, v111                               // 00000000A4FC: 0A9EDF4F
	v_pk_mul_f32 v[4:5], v[80:81], v[80:81]                    // 00000000A500: D3B14004 1802A150
	v_pk_mul_f32 v[6:7], v[82:83], v[82:83]                    // 00000000A508: D3B14006 1802A552
	v_pk_fma_f32 v[4:5], v[4:5], s[78:79], v[8:9]              // 00000000A510: D3B04004 1C209D04
	v_pk_fma_f32 v[6:7], v[6:7], s[78:79], v[8:9]              // 00000000A518: D3B04006 1C209D06
	v_pk_mul_f32 v[4:5], v[4:5], v[80:81]                      // 00000000A520: D3B14004 1802A104
	v_pk_mul_f32 v[6:7], v[6:7], v[82:83]                      // 00000000A528: D3B14006 1802A506
	v_pk_mul_f32 v[4:5], v[4:5], s[60:61]                      // 00000000A530: D3B14004 18007904
	v_pk_mul_f32 v[6:7], v[6:7], s[60:61]                      // 00000000A538: D3B14006 18007906
	v_exp_f32_e32 v4, v4                                       // 00000000A540: 7E084104
	v_exp_f32_e32 v5, v5                                       // 00000000A544: 7E0A4105
	v_exp_f32_e32 v6, v6                                       // 00000000A548: 7E0C4106
	v_exp_f32_e32 v7, v7                                       // 00000000A54C: 7E0E4107
	v_add_f32_e64 v4, v4, 1.0                                  // 00000000A550: D1010004 0001E504
	v_add_f32_e64 v5, v5, 1.0                                  // 00000000A558: D1010005 0001E505
	v_add_f32_e64 v6, v6, 1.0                                  // 00000000A560: D1010006 0001E506
	v_add_f32_e64 v7, v7, 1.0                                  // 00000000A568: D1010007 0001E507
	v_rcp_f32_e32 v4, v4                                       // 00000000A570: 7E084504
	v_rcp_f32_e32 v5, v5                                       // 00000000A574: 7E0A4505
	v_rcp_f32_e32 v6, v6                                       // 00000000A578: 7E0C4506
	v_rcp_f32_e32 v7, v7                                       // 00000000A57C: 7E0E4507
	v_mul_f32_e32 v80, v80, v4                                 // 00000000A580: 0AA00950
	v_mul_f32_e32 v81, v81, v5                                 // 00000000A584: 0AA20B51
	v_mul_f32_e32 v82, v82, v6                                 // 00000000A588: 0AA40D52
	v_mul_f32_e32 v83, v83, v7                                 // 00000000A58C: 0AA60F53
	v_mul_f32_e32 v80, v80, v112                               // 00000000A590: 0AA0E150
	v_mul_f32_e32 v81, v81, v113                               // 00000000A594: 0AA2E351
	v_mul_f32_e32 v82, v82, v114                               // 00000000A598: 0AA4E552
	v_mul_f32_e32 v83, v83, v115                               // 00000000A59C: 0AA6E753
	v_pk_mul_f32 v[4:5], v[84:85], v[84:85]                    // 00000000A5A0: D3B14004 1802A954
	v_pk_mul_f32 v[6:7], v[86:87], v[86:87]                    // 00000000A5A8: D3B14006 1802AD56
	v_pk_fma_f32 v[4:5], v[4:5], s[78:79], v[8:9]              // 00000000A5B0: D3B04004 1C209D04
	v_pk_fma_f32 v[6:7], v[6:7], s[78:79], v[8:9]              // 00000000A5B8: D3B04006 1C209D06
	v_pk_mul_f32 v[4:5], v[4:5], v[84:85]                      // 00000000A5C0: D3B14004 1802A904
	v_pk_mul_f32 v[6:7], v[6:7], v[86:87]                      // 00000000A5C8: D3B14006 1802AD06
	v_pk_mul_f32 v[4:5], v[4:5], s[60:61]                      // 00000000A5D0: D3B14004 18007904
	v_pk_mul_f32 v[6:7], v[6:7], s[60:61]                      // 00000000A5D8: D3B14006 18007906
	v_exp_f32_e32 v4, v4                                       // 00000000A5E0: 7E084104
	v_exp_f32_e32 v5, v5                                       // 00000000A5E4: 7E0A4105
	v_exp_f32_e32 v6, v6                                       // 00000000A5E8: 7E0C4106
	v_exp_f32_e32 v7, v7                                       // 00000000A5EC: 7E0E4107
	v_add_f32_e64 v4, v4, 1.0                                  // 00000000A5F0: D1010004 0001E504
	v_add_f32_e64 v5, v5, 1.0                                  // 00000000A5F8: D1010005 0001E505
	v_add_f32_e64 v6, v6, 1.0                                  // 00000000A600: D1010006 0001E506
	v_add_f32_e64 v7, v7, 1.0                                  // 00000000A608: D1010007 0001E507
	v_rcp_f32_e32 v4, v4                                       // 00000000A610: 7E084504
	v_rcp_f32_e32 v5, v5                                       // 00000000A614: 7E0A4505
	v_rcp_f32_e32 v6, v6                                       // 00000000A618: 7E0C4506
	v_rcp_f32_e32 v7, v7                                       // 00000000A61C: 7E0E4507
	v_mul_f32_e32 v84, v84, v4                                 // 00000000A620: 0AA80954
	v_mul_f32_e32 v85, v85, v5                                 // 00000000A624: 0AAA0B55
	v_mul_f32_e32 v86, v86, v6                                 // 00000000A628: 0AAC0D56
	v_mul_f32_e32 v87, v87, v7                                 // 00000000A62C: 0AAE0F57
	v_mul_f32_e32 v84, v84, v116                               // 00000000A630: 0AA8E954
	v_mul_f32_e32 v85, v85, v117                               // 00000000A634: 0AAAEB55
	v_mul_f32_e32 v86, v86, v118                               // 00000000A638: 0AACED56
	v_mul_f32_e32 v87, v87, v119                               // 00000000A63C: 0AAEEF57
	s_branch label_2014                                        // 00000000A640: BF820100

000000000000a644 <label_1F14>:
	v_mul_f32_e64 v4, -v56, s6                                 // 00000000A644: D1050004 20000D38
	v_mul_f32_e64 v5, -v57, s6                                 // 00000000A64C: D1050005 20000D39
	v_mul_f32_e64 v6, -v58, s6                                 // 00000000A654: D1050006 20000D3A
	v_mul_f32_e64 v7, -v59, s6                                 // 00000000A65C: D1050007 20000D3B
	v_exp_f32_e32 v4, v4                                       // 00000000A664: 7E084104
	v_exp_f32_e32 v5, v5                                       // 00000000A668: 7E0A4105
	v_exp_f32_e32 v6, v6                                       // 00000000A66C: 7E0C4106
	v_exp_f32_e32 v7, v7                                       // 00000000A670: 7E0E4107
	v_add_f32_e64 v4, v4, 1.0                                  // 00000000A674: D1010004 0001E504
	v_add_f32_e64 v5, v5, 1.0                                  // 00000000A67C: D1010005 0001E505
	v_add_f32_e64 v6, v6, 1.0                                  // 00000000A684: D1010006 0001E506
	v_add_f32_e64 v7, v7, 1.0                                  // 00000000A68C: D1010007 0001E507
	v_rcp_f32_e32 v4, v4                                       // 00000000A694: 7E084504
	v_rcp_f32_e32 v5, v5                                       // 00000000A698: 7E0A4505
	v_rcp_f32_e32 v6, v6                                       // 00000000A69C: 7E0C4506
	v_rcp_f32_e32 v7, v7                                       // 00000000A6A0: 7E0E4507
	v_mul_f32_e32 v56, v56, v4                                 // 00000000A6A4: 0A700938
	v_mul_f32_e32 v57, v57, v5                                 // 00000000A6A8: 0A720B39
	v_mul_f32_e32 v58, v58, v6                                 // 00000000A6AC: 0A740D3A
	v_mul_f32_e32 v59, v59, v7                                 // 00000000A6B0: 0A760F3B
	v_mul_f32_e32 v56, v56, v88                                // 00000000A6B4: 0A70B138
	v_mul_f32_e32 v57, v57, v89                                // 00000000A6B8: 0A72B339
	v_mul_f32_e32 v58, v58, v90                                // 00000000A6BC: 0A74B53A
	v_mul_f32_e32 v59, v59, v91                                // 00000000A6C0: 0A76B73B
	v_mul_f32_e64 v4, -v60, s6                                 // 00000000A6C4: D1050004 20000D3C
	v_mul_f32_e64 v5, -v61, s6                                 // 00000000A6CC: D1050005 20000D3D
	v_mul_f32_e64 v6, -v62, s6                                 // 00000000A6D4: D1050006 20000D3E
	v_mul_f32_e64 v7, -v63, s6                                 // 00000000A6DC: D1050007 20000D3F
	v_exp_f32_e32 v4, v4                                       // 00000000A6E4: 7E084104
	v_exp_f32_e32 v5, v5                                       // 00000000A6E8: 7E0A4105
	v_exp_f32_e32 v6, v6                                       // 00000000A6EC: 7E0C4106
	v_exp_f32_e32 v7, v7                                       // 00000000A6F0: 7E0E4107
	v_add_f32_e64 v4, v4, 1.0                                  // 00000000A6F4: D1010004 0001E504
	v_add_f32_e64 v5, v5, 1.0                                  // 00000000A6FC: D1010005 0001E505
	v_add_f32_e64 v6, v6, 1.0                                  // 00000000A704: D1010006 0001E506
	v_add_f32_e64 v7, v7, 1.0                                  // 00000000A70C: D1010007 0001E507
	v_rcp_f32_e32 v4, v4                                       // 00000000A714: 7E084504
	v_rcp_f32_e32 v5, v5                                       // 00000000A718: 7E0A4505
	v_rcp_f32_e32 v6, v6                                       // 00000000A71C: 7E0C4506
	v_rcp_f32_e32 v7, v7                                       // 00000000A720: 7E0E4507
	v_mul_f32_e32 v60, v60, v4                                 // 00000000A724: 0A78093C
	v_mul_f32_e32 v61, v61, v5                                 // 00000000A728: 0A7A0B3D
	v_mul_f32_e32 v62, v62, v6                                 // 00000000A72C: 0A7C0D3E
	v_mul_f32_e32 v63, v63, v7                                 // 00000000A730: 0A7E0F3F
	v_mul_f32_e32 v60, v60, v92                                // 00000000A734: 0A78B93C
	v_mul_f32_e32 v61, v61, v93                                // 00000000A738: 0A7ABB3D
	v_mul_f32_e32 v62, v62, v94                                // 00000000A73C: 0A7CBD3E
	v_mul_f32_e32 v63, v63, v95                                // 00000000A740: 0A7EBF3F
	v_mul_f32_e64 v4, -v64, s6                                 // 00000000A744: D1050004 20000D40
	v_mul_f32_e64 v5, -v65, s6                                 // 00000000A74C: D1050005 20000D41
	v_mul_f32_e64 v6, -v66, s6                                 // 00000000A754: D1050006 20000D42
	v_mul_f32_e64 v7, -v67, s6                                 // 00000000A75C: D1050007 20000D43
	v_exp_f32_e32 v4, v4                                       // 00000000A764: 7E084104
	v_exp_f32_e32 v5, v5                                       // 00000000A768: 7E0A4105
	v_exp_f32_e32 v6, v6                                       // 00000000A76C: 7E0C4106
	v_exp_f32_e32 v7, v7                                       // 00000000A770: 7E0E4107
	v_add_f32_e64 v4, v4, 1.0                                  // 00000000A774: D1010004 0001E504
	v_add_f32_e64 v5, v5, 1.0                                  // 00000000A77C: D1010005 0001E505
	v_add_f32_e64 v6, v6, 1.0                                  // 00000000A784: D1010006 0001E506
	v_add_f32_e64 v7, v7, 1.0                                  // 00000000A78C: D1010007 0001E507
	v_rcp_f32_e32 v4, v4                                       // 00000000A794: 7E084504
	v_rcp_f32_e32 v5, v5                                       // 00000000A798: 7E0A4505
	v_rcp_f32_e32 v6, v6                                       // 00000000A79C: 7E0C4506
	v_rcp_f32_e32 v7, v7                                       // 00000000A7A0: 7E0E4507
	v_mul_f32_e32 v64, v64, v4                                 // 00000000A7A4: 0A800940
	v_mul_f32_e32 v65, v65, v5                                 // 00000000A7A8: 0A820B41
	v_mul_f32_e32 v66, v66, v6                                 // 00000000A7AC: 0A840D42
	v_mul_f32_e32 v67, v67, v7                                 // 00000000A7B0: 0A860F43
	v_mul_f32_e32 v64, v64, v96                                // 00000000A7B4: 0A80C140
	v_mul_f32_e32 v65, v65, v97                                // 00000000A7B8: 0A82C341
	v_mul_f32_e32 v66, v66, v98                                // 00000000A7BC: 0A84C542
	v_mul_f32_e32 v67, v67, v99                                // 00000000A7C0: 0A86C743
	v_mul_f32_e64 v4, -v68, s6                                 // 00000000A7C4: D1050004 20000D44
	v_mul_f32_e64 v5, -v69, s6                                 // 00000000A7CC: D1050005 20000D45
	v_mul_f32_e64 v6, -v70, s6                                 // 00000000A7D4: D1050006 20000D46
	v_mul_f32_e64 v7, -v71, s6                                 // 00000000A7DC: D1050007 20000D47
	v_exp_f32_e32 v4, v4                                       // 00000000A7E4: 7E084104
	v_exp_f32_e32 v5, v5                                       // 00000000A7E8: 7E0A4105
	v_exp_f32_e32 v6, v6                                       // 00000000A7EC: 7E0C4106
	v_exp_f32_e32 v7, v7                                       // 00000000A7F0: 7E0E4107
	v_add_f32_e64 v4, v4, 1.0                                  // 00000000A7F4: D1010004 0001E504
	v_add_f32_e64 v5, v5, 1.0                                  // 00000000A7FC: D1010005 0001E505
	v_add_f32_e64 v6, v6, 1.0                                  // 00000000A804: D1010006 0001E506
	v_add_f32_e64 v7, v7, 1.0                                  // 00000000A80C: D1010007 0001E507
	v_rcp_f32_e32 v4, v4                                       // 00000000A814: 7E084504
	v_rcp_f32_e32 v5, v5                                       // 00000000A818: 7E0A4505
	v_rcp_f32_e32 v6, v6                                       // 00000000A81C: 7E0C4506
	v_rcp_f32_e32 v7, v7                                       // 00000000A820: 7E0E4507
	v_mul_f32_e32 v68, v68, v4                                 // 00000000A824: 0A880944
	v_mul_f32_e32 v69, v69, v5                                 // 00000000A828: 0A8A0B45
	v_mul_f32_e32 v70, v70, v6                                 // 00000000A82C: 0A8C0D46
	v_mul_f32_e32 v71, v71, v7                                 // 00000000A830: 0A8E0F47
	v_mul_f32_e32 v68, v68, v100                               // 00000000A834: 0A88C944
	v_mul_f32_e32 v69, v69, v101                               // 00000000A838: 0A8ACB45
	v_mul_f32_e32 v70, v70, v102                               // 00000000A83C: 0A8CCD46
	v_mul_f32_e32 v71, v71, v103                               // 00000000A840: 0A8ECF47
	v_mul_f32_e64 v4, -v72, s6                                 // 00000000A844: D1050004 20000D48
	v_mul_f32_e64 v5, -v73, s6                                 // 00000000A84C: D1050005 20000D49
	v_mul_f32_e64 v6, -v74, s6                                 // 00000000A854: D1050006 20000D4A
	v_mul_f32_e64 v7, -v75, s6                                 // 00000000A85C: D1050007 20000D4B
	v_exp_f32_e32 v4, v4                                       // 00000000A864: 7E084104
	v_exp_f32_e32 v5, v5                                       // 00000000A868: 7E0A4105
	v_exp_f32_e32 v6, v6                                       // 00000000A86C: 7E0C4106
	v_exp_f32_e32 v7, v7                                       // 00000000A870: 7E0E4107
	v_add_f32_e64 v4, v4, 1.0                                  // 00000000A874: D1010004 0001E504
	v_add_f32_e64 v5, v5, 1.0                                  // 00000000A87C: D1010005 0001E505
	v_add_f32_e64 v6, v6, 1.0                                  // 00000000A884: D1010006 0001E506
	v_add_f32_e64 v7, v7, 1.0                                  // 00000000A88C: D1010007 0001E507
	v_rcp_f32_e32 v4, v4                                       // 00000000A894: 7E084504
	v_rcp_f32_e32 v5, v5                                       // 00000000A898: 7E0A4505
	v_rcp_f32_e32 v6, v6                                       // 00000000A89C: 7E0C4506
	v_rcp_f32_e32 v7, v7                                       // 00000000A8A0: 7E0E4507
	v_mul_f32_e32 v72, v72, v4                                 // 00000000A8A4: 0A900948
	v_mul_f32_e32 v73, v73, v5                                 // 00000000A8A8: 0A920B49
	v_mul_f32_e32 v74, v74, v6                                 // 00000000A8AC: 0A940D4A
	v_mul_f32_e32 v75, v75, v7                                 // 00000000A8B0: 0A960F4B
	v_mul_f32_e32 v72, v72, v104                               // 00000000A8B4: 0A90D148
	v_mul_f32_e32 v73, v73, v105                               // 00000000A8B8: 0A92D349
	v_mul_f32_e32 v74, v74, v106                               // 00000000A8BC: 0A94D54A
	v_mul_f32_e32 v75, v75, v107                               // 00000000A8C0: 0A96D74B
	v_mul_f32_e64 v4, -v76, s6                                 // 00000000A8C4: D1050004 20000D4C
	v_mul_f32_e64 v5, -v77, s6                                 // 00000000A8CC: D1050005 20000D4D
	v_mul_f32_e64 v6, -v78, s6                                 // 00000000A8D4: D1050006 20000D4E
	v_mul_f32_e64 v7, -v79, s6                                 // 00000000A8DC: D1050007 20000D4F
	v_exp_f32_e32 v4, v4                                       // 00000000A8E4: 7E084104
	v_exp_f32_e32 v5, v5                                       // 00000000A8E8: 7E0A4105
	v_exp_f32_e32 v6, v6                                       // 00000000A8EC: 7E0C4106
	v_exp_f32_e32 v7, v7                                       // 00000000A8F0: 7E0E4107
	v_add_f32_e64 v4, v4, 1.0                                  // 00000000A8F4: D1010004 0001E504
	v_add_f32_e64 v5, v5, 1.0                                  // 00000000A8FC: D1010005 0001E505
	v_add_f32_e64 v6, v6, 1.0                                  // 00000000A904: D1010006 0001E506
	v_add_f32_e64 v7, v7, 1.0                                  // 00000000A90C: D1010007 0001E507
	v_rcp_f32_e32 v4, v4                                       // 00000000A914: 7E084504
	v_rcp_f32_e32 v5, v5                                       // 00000000A918: 7E0A4505
	v_rcp_f32_e32 v6, v6                                       // 00000000A91C: 7E0C4506
	v_rcp_f32_e32 v7, v7                                       // 00000000A920: 7E0E4507
	v_mul_f32_e32 v76, v76, v4                                 // 00000000A924: 0A98094C
	v_mul_f32_e32 v77, v77, v5                                 // 00000000A928: 0A9A0B4D
	v_mul_f32_e32 v78, v78, v6                                 // 00000000A92C: 0A9C0D4E
	v_mul_f32_e32 v79, v79, v7                                 // 00000000A930: 0A9E0F4F
	v_mul_f32_e32 v76, v76, v108                               // 00000000A934: 0A98D94C
	v_mul_f32_e32 v77, v77, v109                               // 00000000A938: 0A9ADB4D
	v_mul_f32_e32 v78, v78, v110                               // 00000000A93C: 0A9CDD4E
	v_mul_f32_e32 v79, v79, v111                               // 00000000A940: 0A9EDF4F
	v_mul_f32_e64 v4, -v80, s6                                 // 00000000A944: D1050004 20000D50
	v_mul_f32_e64 v5, -v81, s6                                 // 00000000A94C: D1050005 20000D51
	v_mul_f32_e64 v6, -v82, s6                                 // 00000000A954: D1050006 20000D52
	v_mul_f32_e64 v7, -v83, s6                                 // 00000000A95C: D1050007 20000D53
	v_exp_f32_e32 v4, v4                                       // 00000000A964: 7E084104
	v_exp_f32_e32 v5, v5                                       // 00000000A968: 7E0A4105
	v_exp_f32_e32 v6, v6                                       // 00000000A96C: 7E0C4106
	v_exp_f32_e32 v7, v7                                       // 00000000A970: 7E0E4107
	v_add_f32_e64 v4, v4, 1.0                                  // 00000000A974: D1010004 0001E504
	v_add_f32_e64 v5, v5, 1.0                                  // 00000000A97C: D1010005 0001E505
	v_add_f32_e64 v6, v6, 1.0                                  // 00000000A984: D1010006 0001E506
	v_add_f32_e64 v7, v7, 1.0                                  // 00000000A98C: D1010007 0001E507
	v_rcp_f32_e32 v4, v4                                       // 00000000A994: 7E084504
	v_rcp_f32_e32 v5, v5                                       // 00000000A998: 7E0A4505
	v_rcp_f32_e32 v6, v6                                       // 00000000A99C: 7E0C4506
	v_rcp_f32_e32 v7, v7                                       // 00000000A9A0: 7E0E4507
	v_mul_f32_e32 v80, v80, v4                                 // 00000000A9A4: 0AA00950
	v_mul_f32_e32 v81, v81, v5                                 // 00000000A9A8: 0AA20B51
	v_mul_f32_e32 v82, v82, v6                                 // 00000000A9AC: 0AA40D52
	v_mul_f32_e32 v83, v83, v7                                 // 00000000A9B0: 0AA60F53
	v_mul_f32_e32 v80, v80, v112                               // 00000000A9B4: 0AA0E150
	v_mul_f32_e32 v81, v81, v113                               // 00000000A9B8: 0AA2E351
	v_mul_f32_e32 v82, v82, v114                               // 00000000A9BC: 0AA4E552
	v_mul_f32_e32 v83, v83, v115                               // 00000000A9C0: 0AA6E753
	v_mul_f32_e64 v4, -v84, s6                                 // 00000000A9C4: D1050004 20000D54
	v_mul_f32_e64 v5, -v85, s6                                 // 00000000A9CC: D1050005 20000D55
	v_mul_f32_e64 v6, -v86, s6                                 // 00000000A9D4: D1050006 20000D56
	v_mul_f32_e64 v7, -v87, s6                                 // 00000000A9DC: D1050007 20000D57
	v_exp_f32_e32 v4, v4                                       // 00000000A9E4: 7E084104
	v_exp_f32_e32 v5, v5                                       // 00000000A9E8: 7E0A4105
	v_exp_f32_e32 v6, v6                                       // 00000000A9EC: 7E0C4106
	v_exp_f32_e32 v7, v7                                       // 00000000A9F0: 7E0E4107
	v_add_f32_e64 v4, v4, 1.0                                  // 00000000A9F4: D1010004 0001E504
	v_add_f32_e64 v5, v5, 1.0                                  // 00000000A9FC: D1010005 0001E505
	v_add_f32_e64 v6, v6, 1.0                                  // 00000000AA04: D1010006 0001E506
	v_add_f32_e64 v7, v7, 1.0                                  // 00000000AA0C: D1010007 0001E507
	v_rcp_f32_e32 v4, v4                                       // 00000000AA14: 7E084504
	v_rcp_f32_e32 v5, v5                                       // 00000000AA18: 7E0A4505
	v_rcp_f32_e32 v6, v6                                       // 00000000AA1C: 7E0C4506
	v_rcp_f32_e32 v7, v7                                       // 00000000AA20: 7E0E4507
	v_mul_f32_e32 v84, v84, v4                                 // 00000000AA24: 0AA80954
	v_mul_f32_e32 v85, v85, v5                                 // 00000000AA28: 0AAA0B55
	v_mul_f32_e32 v86, v86, v6                                 // 00000000AA2C: 0AAC0D56
	v_mul_f32_e32 v87, v87, v7                                 // 00000000AA30: 0AAE0F57
	v_mul_f32_e32 v84, v84, v116                               // 00000000AA34: 0AA8E954
	v_mul_f32_e32 v85, v85, v117                               // 00000000AA38: 0AAAEB55
	v_mul_f32_e32 v86, v86, v118                               // 00000000AA3C: 0AACED56
	v_mul_f32_e32 v87, v87, v119                               // 00000000AA40: 0AAEEF57

000000000000aa44 <label_2014>:
	s_cmp_eq_u32 s7, 0                                         // 00000000AA44: BF068007
	s_cbranch_scc0 label_2024                                  // 00000000AA48: BF84000E
	v_and_b32_e32 v4, 15, v0                                   // 00000000AA4C: 2608008F
	v_lshlrev_b32_e32 v4, 2, v4                                // 00000000AA50: 24080882
	buffer_load_dword v30, v4, s[12:15], 0 offen               // 00000000AA54: E0501000 80031E04
	v_add_u32_e32 v4, 64, v4                                   // 00000000AA5C: 680808C0
	buffer_load_dword v31, v4, s[12:15], 0 offen               // 00000000AA60: E0501000 80031F04
	v_add_u32_e32 v4, 64, v4                                   // 00000000AA68: 680808C0
	buffer_load_dword v32, v4, s[12:15], 0 offen               // 00000000AA6C: E0501000 80032004
	v_add_u32_e32 v4, 64, v4                                   // 00000000AA74: 680808C0
	buffer_load_dword v33, v4, s[12:15], 0 offen               // 00000000AA78: E0501000 80032104
	v_add_u32_e32 v4, 64, v4                                   // 00000000AA80: 680808C0

000000000000aa84 <label_2024>:
	v_lshlrev_b32_e32 v4, 2, v0                                // 00000000AA84: 24080082
	s_mul_i32 s60, 0x100, s7                                   // 00000000AA88: 923C07FF 00000100
	v_add_u32_e32 v92, s60, v4                                 // 00000000AA90: 68B8083C
	v_and_b32_e32 v4, 15, v0                                   // 00000000AA94: 2608008F
	v_lshlrev_b32_e32 v93, 2, v4                               // 00000000AA98: 24BA0882
	s_waitcnt lgkmcnt(0)                                       // 00000000AA9C: BF8CC07F
	s_barrier                                                  // 00000000AAA0: BF8A0000
	v_mov_b32_e32 v88, 0x358637bd                              // 00000000AAA4: 7EB002FF 358637BD
	v_max3_f32 v88, |v56|, |v57|, v88                          // 00000000AAAC: D1D30358 05627338
	v_max3_f32 v88, |v58|, |v59|, v88                          // 00000000AAB4: D1D30358 0562773A
	v_max3_f32 v88, |v72|, |v73|, v88                          // 00000000AABC: D1D30358 05629348
	v_max3_f32 v88, |v74|, |v75|, v88                          // 00000000AAC4: D1D30358 0562974A
	ds_write_b32 v92, v88                                      // 00000000AACC: D81A0000 0000585C
	s_waitcnt lgkmcnt(0)                                       // 00000000AAD4: BF8CC07F
	s_barrier                                                  // 00000000AAD8: BF8A0000
	ds_read_b32 v4, v93                                        // 00000000AADC: D86C0000 0400005D
	ds_read_b32 v5, v93 offset:64                              // 00000000AAE4: D86C0040 0500005D
	ds_read_b32 v6, v93 offset:128                             // 00000000AAEC: D86C0080 0600005D
	ds_read_b32 v7, v93 offset:192                             // 00000000AAF4: D86C00C0 0700005D
	ds_read_b32 v8, v93 offset:256                             // 00000000AAFC: D86C0100 0800005D
	ds_read_b32 v9, v93 offset:320                             // 00000000AB04: D86C0140 0900005D
	ds_read_b32 v10, v93 offset:384                            // 00000000AB0C: D86C0180 0A00005D
	ds_read_b32 v11, v93 offset:448                            // 00000000AB14: D86C01C0 0B00005D
	ds_read_b32 v12, v93 offset:512                            // 00000000AB1C: D86C0200 0C00005D
	ds_read_b32 v13, v93 offset:576                            // 00000000AB24: D86C0240 0D00005D
	ds_read_b32 v14, v93 offset:640                            // 00000000AB2C: D86C0280 0E00005D
	ds_read_b32 v15, v93 offset:704                            // 00000000AB34: D86C02C0 0F00005D
	ds_read_b32 v16, v93 offset:768                            // 00000000AB3C: D86C0300 1000005D
	ds_read_b32 v17, v93 offset:832                            // 00000000AB44: D86C0340 1100005D
	ds_read_b32 v18, v93 offset:896                            // 00000000AB4C: D86C0380 1200005D
	ds_read_b32 v19, v93 offset:960                            // 00000000AB54: D86C03C0 1300005D
	s_waitcnt lgkmcnt(0)                                       // 00000000AB5C: BF8CC07F
	s_barrier                                                  // 00000000AB60: BF8A0000
	v_max3_f32 v88, |v4|, |v5|, v88                            // 00000000AB64: D1D30358 05620B04
	v_max3_f32 v88, |v6|, |v7|, v88                            // 00000000AB6C: D1D30358 05620F06
	v_max3_f32 v88, |v8|, |v9|, v88                            // 00000000AB74: D1D30358 05621308
	v_max3_f32 v88, |v10|, |v11|, v88                          // 00000000AB7C: D1D30358 0562170A
	v_max3_f32 v88, |v12|, |v13|, v88                          // 00000000AB84: D1D30358 05621B0C
	v_max3_f32 v88, |v14|, |v15|, v88                          // 00000000AB8C: D1D30358 05621F0E
	v_max3_f32 v88, |v16|, |v17|, v88                          // 00000000AB94: D1D30358 05622310
	v_max3_f32 v88, |v18|, |v19|, v88                          // 00000000AB9C: D1D30358 05622712
	v_rcp_f32_e32 v88, v88                                     // 00000000ABA4: 7EB04558
	v_mov_b32_e32 v4, 0x43700000                               // 00000000ABA8: 7E0802FF 43700000
	v_mul_f32_e32 v88, v4, v88                                 // 00000000ABB0: 0AB0B104
	v_mov_b32_e32 v4, v88                                      // 00000000ABB4: 7E080358
	v_mov_b32_e32 v5, v4                                       // 00000000ABB8: 7E0A0304
	v_pk_mul_f32 v[56:57], v[4:5], v[56:57]                    // 00000000ABBC: D3B14038 18027104
	v_pk_mul_f32 v[58:59], v[4:5], v[58:59]                    // 00000000ABC4: D3B1403A 18027504
	v_cvt_pk_fp8_f32 v56, v56, v57                             // 00000000ABCC: D2A20038 00027338
	v_cvt_pk_fp8_f32 v56, v58, v59 op_sel:[0,0,1]              // 00000000ABD4: D2A24038 0002773A
	v_pk_mul_f32 v[72:73], v[4:5], v[72:73]                    // 00000000ABDC: D3B14048 18029104
	v_pk_mul_f32 v[74:75], v[4:5], v[74:75]                    // 00000000ABE4: D3B1404A 18029504
	v_cvt_pk_fp8_f32 v72, v72, v73                             // 00000000ABEC: D2A20048 00029348
	v_cvt_pk_fp8_f32 v72, v74, v75 op_sel:[0,0,1]              // 00000000ABF4: D2A24048 0002974A
	v_rcp_f32_e32 v88, v88                                     // 00000000ABFC: 7EB04558
	v_mov_b32_e32 v89, 0x358637bd                              // 00000000AC00: 7EB202FF 358637BD
	v_max3_f32 v89, |v60|, |v61|, v89                          // 00000000AC08: D1D30359 05667B3C
	v_max3_f32 v89, |v62|, |v63|, v89                          // 00000000AC10: D1D30359 05667F3E
	v_max3_f32 v89, |v76|, |v77|, v89                          // 00000000AC18: D1D30359 05669B4C
	v_max3_f32 v89, |v78|, |v79|, v89                          // 00000000AC20: D1D30359 05669F4E
	ds_write_b32 v92, v89                                      // 00000000AC28: D81A0000 0000595C
	s_waitcnt lgkmcnt(0)                                       // 00000000AC30: BF8CC07F
	s_barrier                                                  // 00000000AC34: BF8A0000
	ds_read_b32 v4, v93                                        // 00000000AC38: D86C0000 0400005D
	ds_read_b32 v5, v93 offset:64                              // 00000000AC40: D86C0040 0500005D
	ds_read_b32 v6, v93 offset:128                             // 00000000AC48: D86C0080 0600005D
	ds_read_b32 v7, v93 offset:192                             // 00000000AC50: D86C00C0 0700005D
	ds_read_b32 v8, v93 offset:256                             // 00000000AC58: D86C0100 0800005D
	ds_read_b32 v9, v93 offset:320                             // 00000000AC60: D86C0140 0900005D
	ds_read_b32 v10, v93 offset:384                            // 00000000AC68: D86C0180 0A00005D
	ds_read_b32 v11, v93 offset:448                            // 00000000AC70: D86C01C0 0B00005D
	ds_read_b32 v12, v93 offset:512                            // 00000000AC78: D86C0200 0C00005D
	ds_read_b32 v13, v93 offset:576                            // 00000000AC80: D86C0240 0D00005D
	ds_read_b32 v14, v93 offset:640                            // 00000000AC88: D86C0280 0E00005D
	ds_read_b32 v15, v93 offset:704                            // 00000000AC90: D86C02C0 0F00005D
	ds_read_b32 v16, v93 offset:768                            // 00000000AC98: D86C0300 1000005D
	ds_read_b32 v17, v93 offset:832                            // 00000000ACA0: D86C0340 1100005D
	ds_read_b32 v18, v93 offset:896                            // 00000000ACA8: D86C0380 1200005D
	ds_read_b32 v19, v93 offset:960                            // 00000000ACB0: D86C03C0 1300005D
	s_waitcnt lgkmcnt(0)                                       // 00000000ACB8: BF8CC07F
	s_barrier                                                  // 00000000ACBC: BF8A0000
	v_max3_f32 v89, |v4|, |v5|, v89                            // 00000000ACC0: D1D30359 05660B04
	v_max3_f32 v89, |v6|, |v7|, v89                            // 00000000ACC8: D1D30359 05660F06
	v_max3_f32 v89, |v8|, |v9|, v89                            // 00000000ACD0: D1D30359 05661308
	v_max3_f32 v89, |v10|, |v11|, v89                          // 00000000ACD8: D1D30359 0566170A
	v_max3_f32 v89, |v12|, |v13|, v89                          // 00000000ACE0: D1D30359 05661B0C
	v_max3_f32 v89, |v14|, |v15|, v89                          // 00000000ACE8: D1D30359 05661F0E
	v_max3_f32 v89, |v16|, |v17|, v89                          // 00000000ACF0: D1D30359 05662310
	v_max3_f32 v89, |v18|, |v19|, v89                          // 00000000ACF8: D1D30359 05662712
	v_rcp_f32_e32 v89, v89                                     // 00000000AD00: 7EB24559
	v_mov_b32_e32 v4, 0x43700000                               // 00000000AD04: 7E0802FF 43700000
	v_mul_f32_e32 v89, v4, v89                                 // 00000000AD0C: 0AB2B304
	v_mov_b32_e32 v4, v89                                      // 00000000AD10: 7E080359
	v_mov_b32_e32 v5, v4                                       // 00000000AD14: 7E0A0304
	v_pk_mul_f32 v[60:61], v[4:5], v[60:61]                    // 00000000AD18: D3B1403C 18027904
	v_pk_mul_f32 v[62:63], v[4:5], v[62:63]                    // 00000000AD20: D3B1403E 18027D04
	v_cvt_pk_fp8_f32 v60, v60, v61                             // 00000000AD28: D2A2003C 00027B3C
	v_cvt_pk_fp8_f32 v60, v62, v63 op_sel:[0,0,1]              // 00000000AD30: D2A2403C 00027F3E
	v_pk_mul_f32 v[76:77], v[4:5], v[76:77]                    // 00000000AD38: D3B1404C 18029904
	v_pk_mul_f32 v[78:79], v[4:5], v[78:79]                    // 00000000AD40: D3B1404E 18029D04
	v_cvt_pk_fp8_f32 v76, v76, v77                             // 00000000AD48: D2A2004C 00029B4C
	v_cvt_pk_fp8_f32 v76, v78, v79 op_sel:[0,0,1]              // 00000000AD50: D2A2404C 00029F4E
	v_rcp_f32_e32 v89, v89                                     // 00000000AD58: 7EB24559
	v_mov_b32_e32 v90, 0x358637bd                              // 00000000AD5C: 7EB402FF 358637BD
	v_max3_f32 v90, |v64|, |v65|, v90                          // 00000000AD64: D1D3035A 056A8340
	v_max3_f32 v90, |v66|, |v67|, v90                          // 00000000AD6C: D1D3035A 056A8742
	v_max3_f32 v90, |v80|, |v81|, v90                          // 00000000AD74: D1D3035A 056AA350
	v_max3_f32 v90, |v82|, |v83|, v90                          // 00000000AD7C: D1D3035A 056AA752
	ds_write_b32 v92, v90                                      // 00000000AD84: D81A0000 00005A5C
	s_waitcnt lgkmcnt(0)                                       // 00000000AD8C: BF8CC07F
	s_barrier                                                  // 00000000AD90: BF8A0000
	ds_read_b32 v4, v93                                        // 00000000AD94: D86C0000 0400005D
	ds_read_b32 v5, v93 offset:64                              // 00000000AD9C: D86C0040 0500005D
	ds_read_b32 v6, v93 offset:128                             // 00000000ADA4: D86C0080 0600005D
	ds_read_b32 v7, v93 offset:192                             // 00000000ADAC: D86C00C0 0700005D
	ds_read_b32 v8, v93 offset:256                             // 00000000ADB4: D86C0100 0800005D
	ds_read_b32 v9, v93 offset:320                             // 00000000ADBC: D86C0140 0900005D
	ds_read_b32 v10, v93 offset:384                            // 00000000ADC4: D86C0180 0A00005D
	ds_read_b32 v11, v93 offset:448                            // 00000000ADCC: D86C01C0 0B00005D
	ds_read_b32 v12, v93 offset:512                            // 00000000ADD4: D86C0200 0C00005D
	ds_read_b32 v13, v93 offset:576                            // 00000000ADDC: D86C0240 0D00005D
	ds_read_b32 v14, v93 offset:640                            // 00000000ADE4: D86C0280 0E00005D
	ds_read_b32 v15, v93 offset:704                            // 00000000ADEC: D86C02C0 0F00005D
	ds_read_b32 v16, v93 offset:768                            // 00000000ADF4: D86C0300 1000005D
	ds_read_b32 v17, v93 offset:832                            // 00000000ADFC: D86C0340 1100005D
	ds_read_b32 v18, v93 offset:896                            // 00000000AE04: D86C0380 1200005D
	ds_read_b32 v19, v93 offset:960                            // 00000000AE0C: D86C03C0 1300005D
	s_waitcnt lgkmcnt(0)                                       // 00000000AE14: BF8CC07F
	s_barrier                                                  // 00000000AE18: BF8A0000
	v_max3_f32 v90, |v4|, |v5|, v90                            // 00000000AE1C: D1D3035A 056A0B04
	v_max3_f32 v90, |v6|, |v7|, v90                            // 00000000AE24: D1D3035A 056A0F06
	v_max3_f32 v90, |v8|, |v9|, v90                            // 00000000AE2C: D1D3035A 056A1308
	v_max3_f32 v90, |v10|, |v11|, v90                          // 00000000AE34: D1D3035A 056A170A
	v_max3_f32 v90, |v12|, |v13|, v90                          // 00000000AE3C: D1D3035A 056A1B0C
	v_max3_f32 v90, |v14|, |v15|, v90                          // 00000000AE44: D1D3035A 056A1F0E
	v_max3_f32 v90, |v16|, |v17|, v90                          // 00000000AE4C: D1D3035A 056A2310
	v_max3_f32 v90, |v18|, |v19|, v90                          // 00000000AE54: D1D3035A 056A2712
	v_rcp_f32_e32 v90, v90                                     // 00000000AE5C: 7EB4455A
	v_mov_b32_e32 v4, 0x43700000                               // 00000000AE60: 7E0802FF 43700000
	v_mul_f32_e32 v90, v4, v90                                 // 00000000AE68: 0AB4B504
	v_mov_b32_e32 v4, v90                                      // 00000000AE6C: 7E08035A
	v_mov_b32_e32 v5, v4                                       // 00000000AE70: 7E0A0304
	v_pk_mul_f32 v[64:65], v[4:5], v[64:65]                    // 00000000AE74: D3B14040 18028104
	v_pk_mul_f32 v[66:67], v[4:5], v[66:67]                    // 00000000AE7C: D3B14042 18028504
	v_cvt_pk_fp8_f32 v64, v64, v65                             // 00000000AE84: D2A20040 00028340
	v_cvt_pk_fp8_f32 v64, v66, v67 op_sel:[0,0,1]              // 00000000AE8C: D2A24040 00028742
	v_pk_mul_f32 v[80:81], v[4:5], v[80:81]                    // 00000000AE94: D3B14050 1802A104
	v_pk_mul_f32 v[82:83], v[4:5], v[82:83]                    // 00000000AE9C: D3B14052 1802A504
	v_cvt_pk_fp8_f32 v80, v80, v81                             // 00000000AEA4: D2A20050 0002A350
	v_cvt_pk_fp8_f32 v80, v82, v83 op_sel:[0,0,1]              // 00000000AEAC: D2A24050 0002A752
	v_rcp_f32_e32 v90, v90                                     // 00000000AEB4: 7EB4455A
	v_mov_b32_e32 v91, 0x358637bd                              // 00000000AEB8: 7EB602FF 358637BD
	v_max3_f32 v91, |v68|, |v69|, v91                          // 00000000AEC0: D1D3035B 056E8B44
	v_max3_f32 v91, |v70|, |v71|, v91                          // 00000000AEC8: D1D3035B 056E8F46
	v_max3_f32 v91, |v84|, |v85|, v91                          // 00000000AED0: D1D3035B 056EAB54
	v_max3_f32 v91, |v86|, |v87|, v91                          // 00000000AED8: D1D3035B 056EAF56
	ds_write_b32 v92, v91                                      // 00000000AEE0: D81A0000 00005B5C
	s_waitcnt lgkmcnt(0)                                       // 00000000AEE8: BF8CC07F
	s_barrier                                                  // 00000000AEEC: BF8A0000
	ds_read_b32 v4, v93                                        // 00000000AEF0: D86C0000 0400005D
	ds_read_b32 v5, v93 offset:64                              // 00000000AEF8: D86C0040 0500005D
	ds_read_b32 v6, v93 offset:128                             // 00000000AF00: D86C0080 0600005D
	ds_read_b32 v7, v93 offset:192                             // 00000000AF08: D86C00C0 0700005D
	ds_read_b32 v8, v93 offset:256                             // 00000000AF10: D86C0100 0800005D
	ds_read_b32 v9, v93 offset:320                             // 00000000AF18: D86C0140 0900005D
	ds_read_b32 v10, v93 offset:384                            // 00000000AF20: D86C0180 0A00005D
	ds_read_b32 v11, v93 offset:448                            // 00000000AF28: D86C01C0 0B00005D
	ds_read_b32 v12, v93 offset:512                            // 00000000AF30: D86C0200 0C00005D
	ds_read_b32 v13, v93 offset:576                            // 00000000AF38: D86C0240 0D00005D
	ds_read_b32 v14, v93 offset:640                            // 00000000AF40: D86C0280 0E00005D
	ds_read_b32 v15, v93 offset:704                            // 00000000AF48: D86C02C0 0F00005D
	ds_read_b32 v16, v93 offset:768                            // 00000000AF50: D86C0300 1000005D
	ds_read_b32 v17, v93 offset:832                            // 00000000AF58: D86C0340 1100005D
	ds_read_b32 v18, v93 offset:896                            // 00000000AF60: D86C0380 1200005D
	ds_read_b32 v19, v93 offset:960                            // 00000000AF68: D86C03C0 1300005D
	s_waitcnt lgkmcnt(0)                                       // 00000000AF70: BF8CC07F
	s_barrier                                                  // 00000000AF74: BF8A0000
	v_max3_f32 v91, |v4|, |v5|, v91                            // 00000000AF78: D1D3035B 056E0B04
	v_max3_f32 v91, |v6|, |v7|, v91                            // 00000000AF80: D1D3035B 056E0F06
	v_max3_f32 v91, |v8|, |v9|, v91                            // 00000000AF88: D1D3035B 056E1308
	v_max3_f32 v91, |v10|, |v11|, v91                          // 00000000AF90: D1D3035B 056E170A
	v_max3_f32 v91, |v12|, |v13|, v91                          // 00000000AF98: D1D3035B 056E1B0C
	v_max3_f32 v91, |v14|, |v15|, v91                          // 00000000AFA0: D1D3035B 056E1F0E
	v_max3_f32 v91, |v16|, |v17|, v91                          // 00000000AFA8: D1D3035B 056E2310
	v_max3_f32 v91, |v18|, |v19|, v91                          // 00000000AFB0: D1D3035B 056E2712
	v_rcp_f32_e32 v91, v91                                     // 00000000AFB8: 7EB6455B
	v_mov_b32_e32 v4, 0x43700000                               // 00000000AFBC: 7E0802FF 43700000
	v_mul_f32_e32 v91, v4, v91                                 // 00000000AFC4: 0AB6B704
	v_mov_b32_e32 v4, v91                                      // 00000000AFC8: 7E08035B
	v_mov_b32_e32 v5, v4                                       // 00000000AFCC: 7E0A0304
	v_pk_mul_f32 v[68:69], v[4:5], v[68:69]                    // 00000000AFD0: D3B14044 18028904
	v_pk_mul_f32 v[70:71], v[4:5], v[70:71]                    // 00000000AFD8: D3B14046 18028D04
	v_cvt_pk_fp8_f32 v68, v68, v69                             // 00000000AFE0: D2A20044 00028B44
	v_cvt_pk_fp8_f32 v68, v70, v71 op_sel:[0,0,1]              // 00000000AFE8: D2A24044 00028F46
	v_pk_mul_f32 v[84:85], v[4:5], v[84:85]                    // 00000000AFF0: D3B14054 1802A904
	v_pk_mul_f32 v[86:87], v[4:5], v[86:87]                    // 00000000AFF8: D3B14056 1802AD04
	v_cvt_pk_fp8_f32 v84, v84, v85                             // 00000000B000: D2A20054 0002AB54
	v_cvt_pk_fp8_f32 v84, v86, v87 op_sel:[0,0,1]              // 00000000B008: D2A24054 0002AF56
	v_rcp_f32_e32 v91, v91                                     // 00000000B010: 7EB6455B
	v_lshrrev_b32_e32 v4, 5, v0                                // 00000000B014: 20080085
	v_mul_lo_u32 v20, 34, v4                                   // 00000000B018: D2850014 000208A2
	v_and_b32_e32 v4, 31, v0                                   // 00000000B020: 2608009F
	v_lshrrev_b32_e32 v5, 4, v4                                // 00000000B024: 200A0884
	v_add_u32_e32 v20, v5, v20                                 // 00000000B028: 68282905
	v_and_b32_e32 v4, 15, v0                                   // 00000000B02C: 2608008F
	v_mul_lo_u32 v5, 2, v4                                     // 00000000B030: D2850005 00020882
	v_add_u32_e32 v20, v5, v20                                 // 00000000B038: 68282905
	s_mul_i32 s60, s7, 0x44                                    // 00000000B03C: 923CFF07 00000044
	v_add_u32_e32 v20, s60, v20                                // 00000000B044: 6828283C
	v_lshlrev_b32_e32 v20, 2, v20                              // 00000000B048: 24282882
	ds_write_b32 v20, v56                                      // 00000000B04C: D81A0000 00003814
	ds_write_b32 v20, v60 offset:2176                          // 00000000B054: D81A0880 00003C14
	ds_write_b32 v20, v64 offset:4352                          // 00000000B05C: D81A1100 00004014
	ds_write_b32 v20, v68 offset:6528                          // 00000000B064: D81A1980 00004414
	ds_write_b32 v20, v72 offset:1088                          // 00000000B06C: D81A0440 00004814
	ds_write_b32 v20, v76 offset:3264                          // 00000000B074: D81A0CC0 00004C14
	ds_write_b32 v20, v80 offset:5440                          // 00000000B07C: D81A1540 00005014
	ds_write_b32 v20, v84 offset:7616                          // 00000000B084: D81A1DC0 00005414
	v_lshrrev_b32_e32 v4, 5, v0                                // 00000000B08C: 20080085
	v_xor_b32_e32 v5, 1, v4                                    // 00000000B090: 2A0A0881
	s_mul_i32 s60, s65, 1                                      // 00000000B094: 923C8141
	s_cmp_eq_u32 s88, 0                                        // 00000000B098: BF068058
	s_cselect_b32 s61, 1, 8                                    // 00000000B09C: 853D8881
	s_mul_i32 s60, s61, s60                                    // 00000000B0A0: 923C3C3D
	v_readlane_b32 s82, v3, 0                                  // 00000000B0A4: D2890052 00010103
	s_lshr_b32 s61, s82, 24                                    // 00000000B0AC: 8F3D9852
	s_and_b32 s82, s82, 0xffffff                               // 00000000B0B0: 8652FF52 00FFFFFF
	s_mul_i32 s82, s82, s71                                    // 00000000B0B8: 92524752
	s_mul_i32 s61, s60, s61                                    // 00000000B0BC: 923D3D3C
	s_add_u32 s82, s82, s61                                    // 00000000B0C0: 80523D52
	v_mul_lo_u32 v6, v5, s82                                   // 00000000B0C4: D2850006 0000A505
	v_readlane_b32 s82, v3, 1                                  // 00000000B0CC: D2890052 00010303
	s_lshr_b32 s61, s82, 24                                    // 00000000B0D4: 8F3D9852
	s_and_b32 s82, s82, 0xffffff                               // 00000000B0D8: 8652FF52 00FFFFFF
	s_mul_i32 s82, s82, s71                                    // 00000000B0E0: 92524752
	s_mul_i32 s61, s60, s61                                    // 00000000B0E4: 923D3D3C
	s_add_u32 s82, s82, s61                                    // 00000000B0E8: 80523D52
	v_mul_lo_u32 v7, v4, s82                                   // 00000000B0EC: D2850007 0000A504
	v_add_u32_e32 v46, v6, v7                                  // 00000000B0F4: 685C0F06
	v_readlane_b32 s82, v3, 2                                  // 00000000B0F8: D2890052 00010503
	s_lshr_b32 s61, s82, 24                                    // 00000000B100: 8F3D9852
	s_and_b32 s82, s82, 0xffffff                               // 00000000B104: 8652FF52 00FFFFFF
	s_mul_i32 s82, s82, s71                                    // 00000000B10C: 92524752
	s_mul_i32 s61, s60, s61                                    // 00000000B110: 923D3D3C
	s_add_u32 s82, s82, s61                                    // 00000000B114: 80523D52
	v_mul_lo_u32 v6, v5, s82                                   // 00000000B118: D2850006 0000A505
	v_readlane_b32 s82, v3, 3                                  // 00000000B120: D2890052 00010703
	s_lshr_b32 s61, s82, 24                                    // 00000000B128: 8F3D9852
	s_and_b32 s82, s82, 0xffffff                               // 00000000B12C: 8652FF52 00FFFFFF
	s_mul_i32 s82, s82, s71                                    // 00000000B134: 92524752
	s_mul_i32 s61, s60, s61                                    // 00000000B138: 923D3D3C
	s_add_u32 s82, s82, s61                                    // 00000000B13C: 80523D52
	v_mul_lo_u32 v7, v4, s82                                   // 00000000B140: D2850007 0000A504
	v_add_u32_e32 v47, v6, v7                                  // 00000000B148: 685E0F06
	v_readlane_b32 s82, v3, 4                                  // 00000000B14C: D2890052 00010903
	s_lshr_b32 s61, s82, 24                                    // 00000000B154: 8F3D9852
	s_and_b32 s82, s82, 0xffffff                               // 00000000B158: 8652FF52 00FFFFFF
	s_mul_i32 s82, s82, s71                                    // 00000000B160: 92524752
	s_mul_i32 s61, s60, s61                                    // 00000000B164: 923D3D3C
	s_add_u32 s82, s82, s61                                    // 00000000B168: 80523D52
	v_mul_lo_u32 v6, v5, s82                                   // 00000000B16C: D2850006 0000A505
	v_readlane_b32 s82, v3, 5                                  // 00000000B174: D2890052 00010B03
	s_lshr_b32 s61, s82, 24                                    // 00000000B17C: 8F3D9852
	s_and_b32 s82, s82, 0xffffff                               // 00000000B180: 8652FF52 00FFFFFF
	s_mul_i32 s82, s82, s71                                    // 00000000B188: 92524752
	s_mul_i32 s61, s60, s61                                    // 00000000B18C: 923D3D3C
	s_add_u32 s82, s82, s61                                    // 00000000B190: 80523D52
	v_mul_lo_u32 v7, v4, s82                                   // 00000000B194: D2850007 0000A504
	v_add_u32_e32 v48, v6, v7                                  // 00000000B19C: 68600F06
	v_readlane_b32 s82, v3, 6                                  // 00000000B1A0: D2890052 00010D03
	s_lshr_b32 s61, s82, 24                                    // 00000000B1A8: 8F3D9852
	s_and_b32 s82, s82, 0xffffff                               // 00000000B1AC: 8652FF52 00FFFFFF
	s_mul_i32 s82, s82, s71                                    // 00000000B1B4: 92524752
	s_mul_i32 s61, s60, s61                                    // 00000000B1B8: 923D3D3C
	s_add_u32 s82, s82, s61                                    // 00000000B1BC: 80523D52
	v_mul_lo_u32 v6, v5, s82                                   // 00000000B1C0: D2850006 0000A505
	v_readlane_b32 s82, v3, 7                                  // 00000000B1C8: D2890052 00010F03
	s_lshr_b32 s61, s82, 24                                    // 00000000B1D0: 8F3D9852
	s_and_b32 s82, s82, 0xffffff                               // 00000000B1D4: 8652FF52 00FFFFFF
	s_mul_i32 s82, s82, s71                                    // 00000000B1DC: 92524752
	s_mul_i32 s61, s60, s61                                    // 00000000B1E0: 923D3D3C
	s_add_u32 s82, s82, s61                                    // 00000000B1E4: 80523D52
	v_mul_lo_u32 v7, v4, s82                                   // 00000000B1E8: D2850007 0000A504
	v_add_u32_e32 v49, v6, v7                                  // 00000000B1F0: 68620F06
	v_readlane_b32 s82, v3, 8                                  // 00000000B1F4: D2890052 00011103
	s_lshr_b32 s61, s82, 24                                    // 00000000B1FC: 8F3D9852
	s_and_b32 s82, s82, 0xffffff                               // 00000000B200: 8652FF52 00FFFFFF
	s_mul_i32 s82, s82, s71                                    // 00000000B208: 92524752
	s_mul_i32 s61, s60, s61                                    // 00000000B20C: 923D3D3C
	s_add_u32 s82, s82, s61                                    // 00000000B210: 80523D52
	v_mul_lo_u32 v6, v5, s82                                   // 00000000B214: D2850006 0000A505
	v_readlane_b32 s82, v3, 9                                  // 00000000B21C: D2890052 00011303
	s_lshr_b32 s61, s82, 24                                    // 00000000B224: 8F3D9852
	s_and_b32 s82, s82, 0xffffff                               // 00000000B228: 8652FF52 00FFFFFF
	s_mul_i32 s82, s82, s71                                    // 00000000B230: 92524752
	s_mul_i32 s61, s60, s61                                    // 00000000B234: 923D3D3C
	s_add_u32 s82, s82, s61                                    // 00000000B238: 80523D52
	v_mul_lo_u32 v7, v4, s82                                   // 00000000B23C: D2850007 0000A504
	v_add_u32_e32 v50, v6, v7                                  // 00000000B244: 68640F06
	v_readlane_b32 s82, v3, 10                                 // 00000000B248: D2890052 00011503
	s_lshr_b32 s61, s82, 24                                    // 00000000B250: 8F3D9852
	s_and_b32 s82, s82, 0xffffff                               // 00000000B254: 8652FF52 00FFFFFF
	s_mul_i32 s82, s82, s71                                    // 00000000B25C: 92524752
	s_mul_i32 s61, s60, s61                                    // 00000000B260: 923D3D3C
	s_add_u32 s82, s82, s61                                    // 00000000B264: 80523D52
	v_mul_lo_u32 v6, v5, s82                                   // 00000000B268: D2850006 0000A505
	v_readlane_b32 s82, v3, 11                                 // 00000000B270: D2890052 00011703
	s_lshr_b32 s61, s82, 24                                    // 00000000B278: 8F3D9852
	s_and_b32 s82, s82, 0xffffff                               // 00000000B27C: 8652FF52 00FFFFFF
	s_mul_i32 s82, s82, s71                                    // 00000000B284: 92524752
	s_mul_i32 s61, s60, s61                                    // 00000000B288: 923D3D3C
	s_add_u32 s82, s82, s61                                    // 00000000B28C: 80523D52
	v_mul_lo_u32 v7, v4, s82                                   // 00000000B290: D2850007 0000A504
	v_add_u32_e32 v51, v6, v7                                  // 00000000B298: 68660F06
	v_readlane_b32 s82, v3, 12                                 // 00000000B29C: D2890052 00011903
	s_lshr_b32 s61, s82, 24                                    // 00000000B2A4: 8F3D9852
	s_and_b32 s82, s82, 0xffffff                               // 00000000B2A8: 8652FF52 00FFFFFF
	s_mul_i32 s82, s82, s71                                    // 00000000B2B0: 92524752
	s_mul_i32 s61, s60, s61                                    // 00000000B2B4: 923D3D3C
	s_add_u32 s82, s82, s61                                    // 00000000B2B8: 80523D52
	v_mul_lo_u32 v6, v5, s82                                   // 00000000B2BC: D2850006 0000A505
	v_readlane_b32 s82, v3, 13                                 // 00000000B2C4: D2890052 00011B03
	s_lshr_b32 s61, s82, 24                                    // 00000000B2CC: 8F3D9852
	s_and_b32 s82, s82, 0xffffff                               // 00000000B2D0: 8652FF52 00FFFFFF
	s_mul_i32 s82, s82, s71                                    // 00000000B2D8: 92524752
	s_mul_i32 s61, s60, s61                                    // 00000000B2DC: 923D3D3C
	s_add_u32 s82, s82, s61                                    // 00000000B2E0: 80523D52
	v_mul_lo_u32 v7, v4, s82                                   // 00000000B2E4: D2850007 0000A504
	v_add_u32_e32 v52, v6, v7                                  // 00000000B2EC: 68680F06
	v_readlane_b32 s82, v3, 14                                 // 00000000B2F0: D2890052 00011D03
	s_lshr_b32 s61, s82, 24                                    // 00000000B2F8: 8F3D9852
	s_and_b32 s82, s82, 0xffffff                               // 00000000B2FC: 8652FF52 00FFFFFF
	s_mul_i32 s82, s82, s71                                    // 00000000B304: 92524752
	s_mul_i32 s61, s60, s61                                    // 00000000B308: 923D3D3C
	s_add_u32 s82, s82, s61                                    // 00000000B30C: 80523D52
	v_mul_lo_u32 v6, v5, s82                                   // 00000000B310: D2850006 0000A505
	v_readlane_b32 s82, v3, 15                                 // 00000000B318: D2890052 00011F03
	s_lshr_b32 s61, s82, 24                                    // 00000000B320: 8F3D9852
	s_and_b32 s82, s82, 0xffffff                               // 00000000B324: 8652FF52 00FFFFFF
	s_mul_i32 s82, s82, s71                                    // 00000000B32C: 92524752
	s_mul_i32 s61, s60, s61                                    // 00000000B330: 923D3D3C
	s_add_u32 s82, s82, s61                                    // 00000000B334: 80523D52
	v_mul_lo_u32 v7, v4, s82                                   // 00000000B338: D2850007 0000A504
	v_add_u32_e32 v53, v6, v7                                  // 00000000B340: 686A0F06
	v_and_b32_e32 v4, 31, v0                                   // 00000000B344: 2608009F
	v_lshrrev_b32_e32 v4, 1, v4                                // 00000000B348: 20080881
	s_cmp_eq_u32 s88, 0                                        // 00000000B34C: BF068058
	s_cselect_b32 s61, 2, 4                                    // 00000000B350: 853D8482
	v_mul_lo_u32 v4, v4, s61                                   // 00000000B354: D2850004 00007B04
	v_and_b32_e64 v5, v0, 1                                    // 00000000B35C: D1130005 00010300
	v_add_u32_e32 v4, v4, v5                                   // 00000000B364: 68080B04
	v_lshlrev_b32_e32 v4, 2, v4                                // 00000000B368: 24080882
	v_add_u32_e32 v46, v46, v4                                 // 00000000B36C: 685C092E
	v_add_u32_e32 v47, v47, v4                                 // 00000000B370: 685E092F
	v_add_u32_e32 v48, v48, v4                                 // 00000000B374: 68600930
	v_add_u32_e32 v49, v49, v4                                 // 00000000B378: 68620931
	v_add_u32_e32 v50, v50, v4                                 // 00000000B37C: 68640932
	v_add_u32_e32 v51, v51, v4                                 // 00000000B380: 68660933
	v_add_u32_e32 v52, v52, v4                                 // 00000000B384: 68680934
	v_add_u32_e32 v53, v53, v4                                 // 00000000B388: 686A0935
	s_waitcnt lgkmcnt(0)                                       // 00000000B38C: BF8CC07F
	s_barrier                                                  // 00000000B390: BF8A0000
	ds_read_b32 v56, v21                                       // 00000000B394: D86C0000 38000015
	ds_read_b32 v57, v21 offset:64                             // 00000000B39C: D86C0040 39000015
	ds_read_b32 v58, v21 offset:2176                           // 00000000B3A4: D86C0880 3A000015
	ds_read_b32 v59, v21 offset:2240                           // 00000000B3AC: D86C08C0 3B000015
	ds_read_b32 v60, v21 offset:4352                           // 00000000B3B4: D86C1100 3C000015
	ds_read_b32 v61, v21 offset:4416                           // 00000000B3BC: D86C1140 3D000015
	ds_read_b32 v62, v21 offset:6528                           // 00000000B3C4: D86C1980 3E000015
	ds_read_b32 v63, v21 offset:6592                           // 00000000B3CC: D86C19C0 3F000015
	s_waitcnt lgkmcnt(0)                                       // 00000000B3D4: BF8CC07F
	s_mov_b32 s36, -1                                          // 00000000B3D8: BEA400C1
	s_mov_b32 s37, -1                                          // 00000000B3DC: BEA500C1
	v_mov_b32_e32 v7, 0                                        // 00000000B3E0: 7E0E0280
	s_or_b32 s9, s9, 0x40000                                   // 00000000B3E4: 8709FF09 00040000
	s_mov_b64 exec, s[36:37]                                   // 00000000B3EC: BEFE0124
	v_mov_b32_e32 v6, v46                                      // 00000000B3F0: 7E0C032E
	s_mov_b64 s[60:61], 0                                      // 00000000B3F4: BEBC0180
	v_readlane_b32 s82, v3, 0                                  // 00000000B3F8: D2890052 00010103
	s_and_b32 s82, s82, 0xffffff                               // 00000000B400: 8652FF52 00FFFFFF
	s_cmp_lt_u32 s82, s66                                      // 00000000B408: BF0A4252
	s_cselect_b32 s20, s36, s60                                // 00000000B40C: 85143C24
	v_readlane_b32 s82, v3, 1                                  // 00000000B410: D2890052 00010303
	s_and_b32 s82, s82, 0xffffff                               // 00000000B418: 8652FF52 00FFFFFF
	s_cmp_lt_u32 s82, s66                                      // 00000000B420: BF0A4252
	s_cselect_b32 s21, s36, s60                                // 00000000B424: 85153C24
	s_mov_b64 exec, s[20:21]                                   // 00000000B428: BEFE0114
	buffer_store_dword v56, v6, s[8:11], 0 offen               // 00000000B42C: E0701000 80023806
	s_mov_b64 exec, s[36:37]                                   // 00000000B434: BEFE0124
	v_mov_b32_e32 v6, v47                                      // 00000000B438: 7E0C032F
	s_mov_b64 s[60:61], 0                                      // 00000000B43C: BEBC0180
	v_readlane_b32 s82, v3, 2                                  // 00000000B440: D2890052 00010503
	s_and_b32 s82, s82, 0xffffff                               // 00000000B448: 8652FF52 00FFFFFF
	s_cmp_lt_u32 s82, s66                                      // 00000000B450: BF0A4252
	s_cselect_b32 s20, s36, s60                                // 00000000B454: 85143C24
	v_readlane_b32 s82, v3, 3                                  // 00000000B458: D2890052 00010703
	s_and_b32 s82, s82, 0xffffff                               // 00000000B460: 8652FF52 00FFFFFF
	s_cmp_lt_u32 s82, s66                                      // 00000000B468: BF0A4252
	s_cselect_b32 s21, s36, s60                                // 00000000B46C: 85153C24
	s_mov_b64 exec, s[20:21]                                   // 00000000B470: BEFE0114
	buffer_store_dword v57, v6, s[8:11], 0 offen               // 00000000B474: E0701000 80023906
	s_mov_b64 exec, s[36:37]                                   // 00000000B47C: BEFE0124
	v_mov_b32_e32 v6, v48                                      // 00000000B480: 7E0C0330
	s_mov_b64 s[60:61], 0                                      // 00000000B484: BEBC0180
	v_readlane_b32 s82, v3, 4                                  // 00000000B488: D2890052 00010903
	s_and_b32 s82, s82, 0xffffff                               // 00000000B490: 8652FF52 00FFFFFF
	s_cmp_lt_u32 s82, s66                                      // 00000000B498: BF0A4252
	s_cselect_b32 s20, s36, s60                                // 00000000B49C: 85143C24
	v_readlane_b32 s82, v3, 5                                  // 00000000B4A0: D2890052 00010B03
	s_and_b32 s82, s82, 0xffffff                               // 00000000B4A8: 8652FF52 00FFFFFF
	s_cmp_lt_u32 s82, s66                                      // 00000000B4B0: BF0A4252
	s_cselect_b32 s21, s36, s60                                // 00000000B4B4: 85153C24
	s_mov_b64 exec, s[20:21]                                   // 00000000B4B8: BEFE0114
	buffer_store_dword v58, v6, s[8:11], 0 offen               // 00000000B4BC: E0701000 80023A06
	s_mov_b64 exec, s[36:37]                                   // 00000000B4C4: BEFE0124
	v_mov_b32_e32 v6, v49                                      // 00000000B4C8: 7E0C0331
	s_mov_b64 s[60:61], 0                                      // 00000000B4CC: BEBC0180
	v_readlane_b32 s82, v3, 6                                  // 00000000B4D0: D2890052 00010D03
	s_and_b32 s82, s82, 0xffffff                               // 00000000B4D8: 8652FF52 00FFFFFF
	s_cmp_lt_u32 s82, s66                                      // 00000000B4E0: BF0A4252
	s_cselect_b32 s20, s36, s60                                // 00000000B4E4: 85143C24
	v_readlane_b32 s82, v3, 7                                  // 00000000B4E8: D2890052 00010F03
	s_and_b32 s82, s82, 0xffffff                               // 00000000B4F0: 8652FF52 00FFFFFF
	s_cmp_lt_u32 s82, s66                                      // 00000000B4F8: BF0A4252
	s_cselect_b32 s21, s36, s60                                // 00000000B4FC: 85153C24
	s_mov_b64 exec, s[20:21]                                   // 00000000B500: BEFE0114
	buffer_store_dword v59, v6, s[8:11], 0 offen               // 00000000B504: E0701000 80023B06
	s_mov_b64 exec, s[36:37]                                   // 00000000B50C: BEFE0124
	v_mov_b32_e32 v6, v50                                      // 00000000B510: 7E0C0332
	s_mov_b64 s[60:61], 0                                      // 00000000B514: BEBC0180
	v_readlane_b32 s82, v3, 8                                  // 00000000B518: D2890052 00011103
	s_and_b32 s82, s82, 0xffffff                               // 00000000B520: 8652FF52 00FFFFFF
	s_cmp_lt_u32 s82, s66                                      // 00000000B528: BF0A4252
	s_cselect_b32 s20, s36, s60                                // 00000000B52C: 85143C24
	v_readlane_b32 s82, v3, 9                                  // 00000000B530: D2890052 00011303
	s_and_b32 s82, s82, 0xffffff                               // 00000000B538: 8652FF52 00FFFFFF
	s_cmp_lt_u32 s82, s66                                      // 00000000B540: BF0A4252
	s_cselect_b32 s21, s36, s60                                // 00000000B544: 85153C24
	s_mov_b64 exec, s[20:21]                                   // 00000000B548: BEFE0114
	buffer_store_dword v60, v6, s[8:11], 0 offen               // 00000000B54C: E0701000 80023C06
	s_mov_b64 exec, s[36:37]                                   // 00000000B554: BEFE0124
	v_mov_b32_e32 v6, v51                                      // 00000000B558: 7E0C0333
	s_mov_b64 s[60:61], 0                                      // 00000000B55C: BEBC0180
	v_readlane_b32 s82, v3, 10                                 // 00000000B560: D2890052 00011503
	s_and_b32 s82, s82, 0xffffff                               // 00000000B568: 8652FF52 00FFFFFF
	s_cmp_lt_u32 s82, s66                                      // 00000000B570: BF0A4252
	s_cselect_b32 s20, s36, s60                                // 00000000B574: 85143C24
	v_readlane_b32 s82, v3, 11                                 // 00000000B578: D2890052 00011703
	s_and_b32 s82, s82, 0xffffff                               // 00000000B580: 8652FF52 00FFFFFF
	s_cmp_lt_u32 s82, s66                                      // 00000000B588: BF0A4252
	s_cselect_b32 s21, s36, s60                                // 00000000B58C: 85153C24
	s_mov_b64 exec, s[20:21]                                   // 00000000B590: BEFE0114
	buffer_store_dword v61, v6, s[8:11], 0 offen               // 00000000B594: E0701000 80023D06
	s_mov_b64 exec, s[36:37]                                   // 00000000B59C: BEFE0124
	v_mov_b32_e32 v6, v52                                      // 00000000B5A0: 7E0C0334
	s_mov_b64 s[60:61], 0                                      // 00000000B5A4: BEBC0180
	v_readlane_b32 s82, v3, 12                                 // 00000000B5A8: D2890052 00011903
	s_and_b32 s82, s82, 0xffffff                               // 00000000B5B0: 8652FF52 00FFFFFF
	s_cmp_lt_u32 s82, s66                                      // 00000000B5B8: BF0A4252
	s_cselect_b32 s20, s36, s60                                // 00000000B5BC: 85143C24
	v_readlane_b32 s82, v3, 13                                 // 00000000B5C0: D2890052 00011B03
	s_and_b32 s82, s82, 0xffffff                               // 00000000B5C8: 8652FF52 00FFFFFF
	s_cmp_lt_u32 s82, s66                                      // 00000000B5D0: BF0A4252
	s_cselect_b32 s21, s36, s60                                // 00000000B5D4: 85153C24
	s_mov_b64 exec, s[20:21]                                   // 00000000B5D8: BEFE0114
	buffer_store_dword v62, v6, s[8:11], 0 offen               // 00000000B5DC: E0701000 80023E06
	s_mov_b64 exec, s[36:37]                                   // 00000000B5E4: BEFE0124
	v_mov_b32_e32 v6, v53                                      // 00000000B5E8: 7E0C0335
	s_mov_b64 s[60:61], 0                                      // 00000000B5EC: BEBC0180
	v_readlane_b32 s82, v3, 14                                 // 00000000B5F0: D2890052 00011D03
	s_and_b32 s82, s82, 0xffffff                               // 00000000B5F8: 8652FF52 00FFFFFF
	s_cmp_lt_u32 s82, s66                                      // 00000000B600: BF0A4252
	s_cselect_b32 s20, s36, s60                                // 00000000B604: 85143C24
	v_readlane_b32 s82, v3, 15                                 // 00000000B608: D2890052 00011F03
	s_and_b32 s82, s82, 0xffffff                               // 00000000B610: 8652FF52 00FFFFFF
	s_cmp_lt_u32 s82, s66                                      // 00000000B618: BF0A4252
	s_cselect_b32 s21, s36, s60                                // 00000000B61C: 85153C24
	s_mov_b64 exec, s[20:21]                                   // 00000000B620: BEFE0114
	buffer_store_dword v63, v6, s[8:11], 0 offen               // 00000000B624: E0701000 80023F06
	s_mov_b64 exec, s[36:37]                                   // 00000000B62C: BEFE0124
	s_cmp_eq_u32 s7, 0                                         // 00000000B630: BF068007
	s_cbranch_scc0 label_2766                                  // 00000000B634: BF840455
	s_waitcnt vmcnt(8)                                         // 00000000B638: BF8C0F78
	s_mov_b32 s8, s90                                          // 00000000B63C: BE88005A
	s_mov_b32 s9, s91                                          // 00000000B640: BE89005B
	s_mul_i32 s60, s66, s71                                    // 00000000B644: 923C4742
	s_add_u32 s8, s60, s8                                      // 00000000B648: 8008083C
	s_addc_u32 s9, 0, s9                                       // 00000000B64C: 82090980
	s_lshr_b32 s71, s71, 5                                     // 00000000B650: 8F478547
	s_mul_i32 s60, s66, s71                                    // 00000000B654: 923C4742
	s_mov_b32 s10, s60                                         // 00000000B658: BE8A003C
	s_lshr_b32 s61, s65, 5                                     // 00000000B65C: 8F3D8541
	s_mul_i32 s60, s2, 4                                       // 00000000B660: 923C8402
	v_lshrrev_b32_e32 v4, 24, v30                              // 00000000B664: 20083C98
	v_mul_lo_u32 v4, s61, v4                                   // 00000000B668: D2850004 0002083D
	v_and_b32_e32 v30, 0xffffff, v30                           // 00000000B670: 263C3CFF 00FFFFFF
	v_mul_lo_u32 v30, s71, v30                                 // 00000000B678: D285001E 00023C47
	v_add_u32_e32 v30, v4, v30                                 // 00000000B680: 683C3D04
	v_add_u32_e32 v30, s60, v30                                // 00000000B684: 683C3C3C
	v_lshrrev_b32_e32 v4, 24, v31                              // 00000000B688: 20083E98
	v_mul_lo_u32 v4, s61, v4                                   // 00000000B68C: D2850004 0002083D
	v_and_b32_e32 v31, 0xffffff, v31                           // 00000000B694: 263E3EFF 00FFFFFF
	v_mul_lo_u32 v31, s71, v31                                 // 00000000B69C: D285001F 00023E47
	v_add_u32_e32 v31, v4, v31                                 // 00000000B6A4: 683E3F04
	v_add_u32_e32 v31, s60, v31                                // 00000000B6A8: 683E3E3C
	v_lshrrev_b32_e32 v4, 24, v32                              // 00000000B6AC: 20084098
	v_mul_lo_u32 v4, s61, v4                                   // 00000000B6B0: D2850004 0002083D
	v_and_b32_e32 v32, 0xffffff, v32                           // 00000000B6B8: 264040FF 00FFFFFF
	v_mul_lo_u32 v32, s71, v32                                 // 00000000B6C0: D2850020 00024047
	v_add_u32_e32 v32, v4, v32                                 // 00000000B6C8: 68404104
	v_add_u32_e32 v32, s60, v32                                // 00000000B6CC: 6840403C
	v_lshrrev_b32_e32 v4, 24, v33                              // 00000000B6D0: 20084298
	v_mul_lo_u32 v4, s61, v4                                   // 00000000B6D4: D2850004 0002083D
	v_and_b32_e32 v33, 0xffffff, v33                           // 00000000B6DC: 264242FF 00FFFFFF
	v_mul_lo_u32 v33, s71, v33                                 // 00000000B6E4: D2850021 00024247
	v_add_u32_e32 v33, v4, v33                                 // 00000000B6EC: 68424304
	v_add_u32_e32 v33, s60, v33                                // 00000000B6F0: 6842423C
	s_mov_b64 exec, 0xffff                                     // 00000000B6F4: BEFE01FF 0000FFFF
	buffer_store_dword v88, v30, s[8:11], 0 offen              // 00000000B6FC: E0701000 8002581E
	buffer_store_dword v89, v31, s[8:11], 0 offen              // 00000000B704: E0701000 8002591F
	buffer_store_dword v90, v32, s[8:11], 0 offen              // 00000000B70C: E0701000 80025A20
	buffer_store_dword v91, v33, s[8:11], 0 offen              // 00000000B714: E0701000 80025B21
	s_mov_b64 exec, s[36:37]                                   // 00000000B71C: BEFE0124
	s_branch label_2766                                        // 00000000B720: BF82041A

000000000000b724 <label_234C>:
	ds_write_b64 v20, v[56:57]                                 // 00000000B724: D89A0000 00003814
	ds_write_b64 v20, v[60:61] offset:4352                     // 00000000B72C: D89A1100 00003C14
	ds_write_b64 v20, v[64:65] offset:8704                     // 00000000B734: D89A2200 00004014
	ds_write_b64 v20, v[68:69] offset:13056                    // 00000000B73C: D89A3300 00004414
	ds_write_b64 v20, v[72:73] offset:2176                     // 00000000B744: D89A0880 00004814
	ds_write_b64 v20, v[76:77] offset:6528                     // 00000000B74C: D89A1980 00004C14
	ds_write_b64 v20, v[80:81] offset:10880                    // 00000000B754: D89A2A80 00005014
	ds_write_b64 v20, v[84:85] offset:15232                    // 00000000B75C: D89A3B80 00005414
	v_lshrrev_b32_e32 v4, 5, v0                                // 00000000B764: 20080085
	v_xor_b32_e32 v5, 1, v4                                    // 00000000B768: 2A0A0881
	s_mul_i32 s60, s65, 1                                      // 00000000B76C: 923C8141
	s_cmp_eq_u32 s88, 0                                        // 00000000B770: BF068058
	s_cselect_b32 s61, 1, 8                                    // 00000000B774: 853D8881
	s_mul_i32 s60, s61, s60                                    // 00000000B778: 923C3C3D
	v_readlane_b32 s82, v3, 0                                  // 00000000B77C: D2890052 00010103
	s_lshr_b32 s61, s82, 24                                    // 00000000B784: 8F3D9852
	s_and_b32 s82, s82, 0xffffff                               // 00000000B788: 8652FF52 00FFFFFF
	s_mul_i32 s82, s82, s71                                    // 00000000B790: 92524752
	s_mul_i32 s61, s60, s61                                    // 00000000B794: 923D3D3C
	s_add_u32 s82, s82, s61                                    // 00000000B798: 80523D52
	v_mul_lo_u32 v6, v5, s82                                   // 00000000B79C: D2850006 0000A505
	v_readlane_b32 s82, v3, 1                                  // 00000000B7A4: D2890052 00010303
	s_lshr_b32 s61, s82, 24                                    // 00000000B7AC: 8F3D9852
	s_and_b32 s82, s82, 0xffffff                               // 00000000B7B0: 8652FF52 00FFFFFF
	s_mul_i32 s82, s82, s71                                    // 00000000B7B8: 92524752
	s_mul_i32 s61, s60, s61                                    // 00000000B7BC: 923D3D3C
	s_add_u32 s82, s82, s61                                    // 00000000B7C0: 80523D52
	v_mul_lo_u32 v7, v4, s82                                   // 00000000B7C4: D2850007 0000A504
	v_add_u32_e32 v46, v6, v7                                  // 00000000B7CC: 685C0F06
	v_readlane_b32 s82, v3, 2                                  // 00000000B7D0: D2890052 00010503
	s_lshr_b32 s61, s82, 24                                    // 00000000B7D8: 8F3D9852
	s_and_b32 s82, s82, 0xffffff                               // 00000000B7DC: 8652FF52 00FFFFFF
	s_mul_i32 s82, s82, s71                                    // 00000000B7E4: 92524752
	s_mul_i32 s61, s60, s61                                    // 00000000B7E8: 923D3D3C
	s_add_u32 s82, s82, s61                                    // 00000000B7EC: 80523D52
	v_mul_lo_u32 v6, v5, s82                                   // 00000000B7F0: D2850006 0000A505
	v_readlane_b32 s82, v3, 3                                  // 00000000B7F8: D2890052 00010703
	s_lshr_b32 s61, s82, 24                                    // 00000000B800: 8F3D9852
	s_and_b32 s82, s82, 0xffffff                               // 00000000B804: 8652FF52 00FFFFFF
	s_mul_i32 s82, s82, s71                                    // 00000000B80C: 92524752
	s_mul_i32 s61, s60, s61                                    // 00000000B810: 923D3D3C
	s_add_u32 s82, s82, s61                                    // 00000000B814: 80523D52
	v_mul_lo_u32 v7, v4, s82                                   // 00000000B818: D2850007 0000A504
	v_add_u32_e32 v47, v6, v7                                  // 00000000B820: 685E0F06
	v_readlane_b32 s82, v3, 4                                  // 00000000B824: D2890052 00010903
	s_lshr_b32 s61, s82, 24                                    // 00000000B82C: 8F3D9852
	s_and_b32 s82, s82, 0xffffff                               // 00000000B830: 8652FF52 00FFFFFF
	s_mul_i32 s82, s82, s71                                    // 00000000B838: 92524752
	s_mul_i32 s61, s60, s61                                    // 00000000B83C: 923D3D3C
	s_add_u32 s82, s82, s61                                    // 00000000B840: 80523D52
	v_mul_lo_u32 v6, v5, s82                                   // 00000000B844: D2850006 0000A505
	v_readlane_b32 s82, v3, 5                                  // 00000000B84C: D2890052 00010B03
	s_lshr_b32 s61, s82, 24                                    // 00000000B854: 8F3D9852
	s_and_b32 s82, s82, 0xffffff                               // 00000000B858: 8652FF52 00FFFFFF
	s_mul_i32 s82, s82, s71                                    // 00000000B860: 92524752
	s_mul_i32 s61, s60, s61                                    // 00000000B864: 923D3D3C
	s_add_u32 s82, s82, s61                                    // 00000000B868: 80523D52
	v_mul_lo_u32 v7, v4, s82                                   // 00000000B86C: D2850007 0000A504
	v_add_u32_e32 v48, v6, v7                                  // 00000000B874: 68600F06
	v_readlane_b32 s82, v3, 6                                  // 00000000B878: D2890052 00010D03
	s_lshr_b32 s61, s82, 24                                    // 00000000B880: 8F3D9852
	s_and_b32 s82, s82, 0xffffff                               // 00000000B884: 8652FF52 00FFFFFF
	s_mul_i32 s82, s82, s71                                    // 00000000B88C: 92524752
	s_mul_i32 s61, s60, s61                                    // 00000000B890: 923D3D3C
	s_add_u32 s82, s82, s61                                    // 00000000B894: 80523D52
	v_mul_lo_u32 v6, v5, s82                                   // 00000000B898: D2850006 0000A505
	v_readlane_b32 s82, v3, 7                                  // 00000000B8A0: D2890052 00010F03
	s_lshr_b32 s61, s82, 24                                    // 00000000B8A8: 8F3D9852
	s_and_b32 s82, s82, 0xffffff                               // 00000000B8AC: 8652FF52 00FFFFFF
	s_mul_i32 s82, s82, s71                                    // 00000000B8B4: 92524752
	s_mul_i32 s61, s60, s61                                    // 00000000B8B8: 923D3D3C
	s_add_u32 s82, s82, s61                                    // 00000000B8BC: 80523D52
	v_mul_lo_u32 v7, v4, s82                                   // 00000000B8C0: D2850007 0000A504
	v_add_u32_e32 v49, v6, v7                                  // 00000000B8C8: 68620F06
	v_readlane_b32 s82, v3, 8                                  // 00000000B8CC: D2890052 00011103
	s_lshr_b32 s61, s82, 24                                    // 00000000B8D4: 8F3D9852
	s_and_b32 s82, s82, 0xffffff                               // 00000000B8D8: 8652FF52 00FFFFFF
	s_mul_i32 s82, s82, s71                                    // 00000000B8E0: 92524752
	s_mul_i32 s61, s60, s61                                    // 00000000B8E4: 923D3D3C
	s_add_u32 s82, s82, s61                                    // 00000000B8E8: 80523D52
	v_mul_lo_u32 v6, v5, s82                                   // 00000000B8EC: D2850006 0000A505
	v_readlane_b32 s82, v3, 9                                  // 00000000B8F4: D2890052 00011303
	s_lshr_b32 s61, s82, 24                                    // 00000000B8FC: 8F3D9852
	s_and_b32 s82, s82, 0xffffff                               // 00000000B900: 8652FF52 00FFFFFF
	s_mul_i32 s82, s82, s71                                    // 00000000B908: 92524752
	s_mul_i32 s61, s60, s61                                    // 00000000B90C: 923D3D3C
	s_add_u32 s82, s82, s61                                    // 00000000B910: 80523D52
	v_mul_lo_u32 v7, v4, s82                                   // 00000000B914: D2850007 0000A504
	v_add_u32_e32 v50, v6, v7                                  // 00000000B91C: 68640F06
	v_readlane_b32 s82, v3, 10                                 // 00000000B920: D2890052 00011503
	s_lshr_b32 s61, s82, 24                                    // 00000000B928: 8F3D9852
	s_and_b32 s82, s82, 0xffffff                               // 00000000B92C: 8652FF52 00FFFFFF
	s_mul_i32 s82, s82, s71                                    // 00000000B934: 92524752
	s_mul_i32 s61, s60, s61                                    // 00000000B938: 923D3D3C
	s_add_u32 s82, s82, s61                                    // 00000000B93C: 80523D52
	v_mul_lo_u32 v6, v5, s82                                   // 00000000B940: D2850006 0000A505
	v_readlane_b32 s82, v3, 11                                 // 00000000B948: D2890052 00011703
	s_lshr_b32 s61, s82, 24                                    // 00000000B950: 8F3D9852
	s_and_b32 s82, s82, 0xffffff                               // 00000000B954: 8652FF52 00FFFFFF
	s_mul_i32 s82, s82, s71                                    // 00000000B95C: 92524752
	s_mul_i32 s61, s60, s61                                    // 00000000B960: 923D3D3C
	s_add_u32 s82, s82, s61                                    // 00000000B964: 80523D52
	v_mul_lo_u32 v7, v4, s82                                   // 00000000B968: D2850007 0000A504
	v_add_u32_e32 v51, v6, v7                                  // 00000000B970: 68660F06
	v_readlane_b32 s82, v3, 12                                 // 00000000B974: D2890052 00011903
	s_lshr_b32 s61, s82, 24                                    // 00000000B97C: 8F3D9852
	s_and_b32 s82, s82, 0xffffff                               // 00000000B980: 8652FF52 00FFFFFF
	s_mul_i32 s82, s82, s71                                    // 00000000B988: 92524752
	s_mul_i32 s61, s60, s61                                    // 00000000B98C: 923D3D3C
	s_add_u32 s82, s82, s61                                    // 00000000B990: 80523D52
	v_mul_lo_u32 v6, v5, s82                                   // 00000000B994: D2850006 0000A505
	v_readlane_b32 s82, v3, 13                                 // 00000000B99C: D2890052 00011B03
	s_lshr_b32 s61, s82, 24                                    // 00000000B9A4: 8F3D9852
	s_and_b32 s82, s82, 0xffffff                               // 00000000B9A8: 8652FF52 00FFFFFF
	s_mul_i32 s82, s82, s71                                    // 00000000B9B0: 92524752
	s_mul_i32 s61, s60, s61                                    // 00000000B9B4: 923D3D3C
	s_add_u32 s82, s82, s61                                    // 00000000B9B8: 80523D52
	v_mul_lo_u32 v7, v4, s82                                   // 00000000B9BC: D2850007 0000A504
	v_add_u32_e32 v52, v6, v7                                  // 00000000B9C4: 68680F06
	v_readlane_b32 s82, v3, 14                                 // 00000000B9C8: D2890052 00011D03
	s_lshr_b32 s61, s82, 24                                    // 00000000B9D0: 8F3D9852
	s_and_b32 s82, s82, 0xffffff                               // 00000000B9D4: 8652FF52 00FFFFFF
	s_mul_i32 s82, s82, s71                                    // 00000000B9DC: 92524752
	s_mul_i32 s61, s60, s61                                    // 00000000B9E0: 923D3D3C
	s_add_u32 s82, s82, s61                                    // 00000000B9E4: 80523D52
	v_mul_lo_u32 v6, v5, s82                                   // 00000000B9E8: D2850006 0000A505
	v_readlane_b32 s82, v3, 15                                 // 00000000B9F0: D2890052 00011F03
	s_lshr_b32 s61, s82, 24                                    // 00000000B9F8: 8F3D9852
	s_and_b32 s82, s82, 0xffffff                               // 00000000B9FC: 8652FF52 00FFFFFF
	s_mul_i32 s82, s82, s71                                    // 00000000BA04: 92524752
	s_mul_i32 s61, s60, s61                                    // 00000000BA08: 923D3D3C
	s_add_u32 s82, s82, s61                                    // 00000000BA0C: 80523D52
	v_mul_lo_u32 v7, v4, s82                                   // 00000000BA10: D2850007 0000A504
	v_add_u32_e32 v53, v6, v7                                  // 00000000BA18: 686A0F06
	v_and_b32_e32 v4, 31, v0                                   // 00000000BA1C: 2608009F
	v_lshrrev_b32_e32 v4, 1, v4                                // 00000000BA20: 20080881
	s_cmp_eq_u32 s88, 0                                        // 00000000BA24: BF068058
	s_cselect_b32 s61, 2, 4                                    // 00000000BA28: 853D8482
	v_mul_lo_u32 v4, v4, s61                                   // 00000000BA2C: D2850004 00007B04
	v_and_b32_e64 v5, v0, 1                                    // 00000000BA34: D1130005 00010300
	v_add_u32_e32 v4, v4, v5                                   // 00000000BA3C: 68080B04
	v_lshlrev_b32_e32 v4, 2, v4                                // 00000000BA40: 24080882
	v_add_u32_e32 v46, v46, v4                                 // 00000000BA44: 685C092E
	v_add_u32_e32 v47, v47, v4                                 // 00000000BA48: 685E092F
	v_add_u32_e32 v48, v48, v4                                 // 00000000BA4C: 68600930
	v_add_u32_e32 v49, v49, v4                                 // 00000000BA50: 68620931
	v_add_u32_e32 v50, v50, v4                                 // 00000000BA54: 68640932
	v_add_u32_e32 v51, v51, v4                                 // 00000000BA58: 68660933
	v_add_u32_e32 v52, v52, v4                                 // 00000000BA5C: 68680934
	v_add_u32_e32 v53, v53, v4                                 // 00000000BA60: 686A0935
	s_waitcnt lgkmcnt(0)                                       // 00000000BA64: BF8CC07F
	s_barrier                                                  // 00000000BA68: BF8A0000
	ds_read_b32 v56, v21                                       // 00000000BA6C: D86C0000 38000015
	ds_read_b32 v57, v21 offset:64                             // 00000000BA74: D86C0040 39000015
	ds_read_b32 v60, v21 offset:2176                           // 00000000BA7C: D86C0880 3C000015
	ds_read_b32 v61, v21 offset:2240                           // 00000000BA84: D86C08C0 3D000015
	ds_read_b32 v64, v21 offset:4352                           // 00000000BA8C: D86C1100 40000015
	ds_read_b32 v65, v21 offset:4416                           // 00000000BA94: D86C1140 41000015
	ds_read_b32 v68, v21 offset:6528                           // 00000000BA9C: D86C1980 44000015
	ds_read_b32 v69, v21 offset:6592                           // 00000000BAA4: D86C19C0 45000015
	ds_read_b32 v72, v21 offset:8704                           // 00000000BAAC: D86C2200 48000015
	ds_read_b32 v73, v21 offset:8768                           // 00000000BAB4: D86C2240 49000015
	ds_read_b32 v76, v21 offset:10880                          // 00000000BABC: D86C2A80 4C000015
	ds_read_b32 v77, v21 offset:10944                          // 00000000BAC4: D86C2AC0 4D000015
	ds_read_b32 v80, v21 offset:13056                          // 00000000BACC: D86C3300 50000015
	ds_read_b32 v81, v21 offset:13120                          // 00000000BAD4: D86C3340 51000015
	ds_read_b32 v84, v21 offset:15232                          // 00000000BADC: D86C3B80 54000015
	ds_read_b32 v85, v21 offset:15296                          // 00000000BAE4: D86C3BC0 55000015
	s_waitcnt lgkmcnt(0)                                       // 00000000BAEC: BF8CC07F
	s_mov_b32 s36, -1                                          // 00000000BAF0: BEA400C1
	s_mov_b32 s37, -1                                          // 00000000BAF4: BEA500C1
	v_mov_b32_e32 v7, 0                                        // 00000000BAF8: 7E0E0280
	s_mov_b64 exec, s[36:37]                                   // 00000000BAFC: BEFE0124
	v_mov_b32_e32 v6, v46                                      // 00000000BB00: 7E0C032E
	s_mov_b64 s[60:61], 0                                      // 00000000BB04: BEBC0180
	v_readlane_b32 s82, v3, 0                                  // 00000000BB08: D2890052 00010103
	s_and_b32 s82, s82, 0xffffff                               // 00000000BB10: 8652FF52 00FFFFFF
	s_cmp_lt_u32 s82, s66                                      // 00000000BB18: BF0A4252
	s_cselect_b32 s20, s36, s60                                // 00000000BB1C: 85143C24
	v_readlane_b32 s82, v3, 1                                  // 00000000BB20: D2890052 00010303
	s_and_b32 s82, s82, 0xffffff                               // 00000000BB28: 8652FF52 00FFFFFF
	s_cmp_lt_u32 s82, s66                                      // 00000000BB30: BF0A4252
	s_cselect_b32 s21, s36, s60                                // 00000000BB34: 85153C24
	s_mov_b64 exec, s[20:21]                                   // 00000000BB38: BEFE0114
	global_atomic_add_f32 v6, v56, s[8:9]                      // 00000000BB3C: DD348000 00083806
	global_atomic_add_f32 v6, v60, s[8:9] offset:256           // 00000000BB44: DD348100 00083C06
	s_mov_b64 exec, s[36:37]                                   // 00000000BB4C: BEFE0124
	v_mov_b32_e32 v6, v47                                      // 00000000BB50: 7E0C032F
	s_mov_b64 s[60:61], 0                                      // 00000000BB54: BEBC0180
	v_readlane_b32 s82, v3, 2                                  // 00000000BB58: D2890052 00010503
	s_and_b32 s82, s82, 0xffffff                               // 00000000BB60: 8652FF52 00FFFFFF
	s_cmp_lt_u32 s82, s66                                      // 00000000BB68: BF0A4252
	s_cselect_b32 s20, s36, s60                                // 00000000BB6C: 85143C24
	v_readlane_b32 s82, v3, 3                                  // 00000000BB70: D2890052 00010703
	s_and_b32 s82, s82, 0xffffff                               // 00000000BB78: 8652FF52 00FFFFFF
	s_cmp_lt_u32 s82, s66                                      // 00000000BB80: BF0A4252
	s_cselect_b32 s21, s36, s60                                // 00000000BB84: 85153C24
	s_mov_b64 exec, s[20:21]                                   // 00000000BB88: BEFE0114
	global_atomic_add_f32 v6, v57, s[8:9]                      // 00000000BB8C: DD348000 00083906
	global_atomic_add_f32 v6, v61, s[8:9] offset:256           // 00000000BB94: DD348100 00083D06
	s_mov_b64 exec, s[36:37]                                   // 00000000BB9C: BEFE0124
	v_mov_b32_e32 v6, v48                                      // 00000000BBA0: 7E0C0330
	s_mov_b64 s[60:61], 0                                      // 00000000BBA4: BEBC0180
	v_readlane_b32 s82, v3, 4                                  // 00000000BBA8: D2890052 00010903
	s_and_b32 s82, s82, 0xffffff                               // 00000000BBB0: 8652FF52 00FFFFFF
	s_cmp_lt_u32 s82, s66                                      // 00000000BBB8: BF0A4252
	s_cselect_b32 s20, s36, s60                                // 00000000BBBC: 85143C24
	v_readlane_b32 s82, v3, 5                                  // 00000000BBC0: D2890052 00010B03
	s_and_b32 s82, s82, 0xffffff                               // 00000000BBC8: 8652FF52 00FFFFFF
	s_cmp_lt_u32 s82, s66                                      // 00000000BBD0: BF0A4252
	s_cselect_b32 s21, s36, s60                                // 00000000BBD4: 85153C24
	s_mov_b64 exec, s[20:21]                                   // 00000000BBD8: BEFE0114
	global_atomic_add_f32 v6, v64, s[8:9]                      // 00000000BBDC: DD348000 00084006
	global_atomic_add_f32 v6, v68, s[8:9] offset:256           // 00000000BBE4: DD348100 00084406
	s_mov_b64 exec, s[36:37]                                   // 00000000BBEC: BEFE0124
	v_mov_b32_e32 v6, v49                                      // 00000000BBF0: 7E0C0331
	s_mov_b64 s[60:61], 0                                      // 00000000BBF4: BEBC0180
	v_readlane_b32 s82, v3, 6                                  // 00000000BBF8: D2890052 00010D03
	s_and_b32 s82, s82, 0xffffff                               // 00000000BC00: 8652FF52 00FFFFFF
	s_cmp_lt_u32 s82, s66                                      // 00000000BC08: BF0A4252
	s_cselect_b32 s20, s36, s60                                // 00000000BC0C: 85143C24
	v_readlane_b32 s82, v3, 7                                  // 00000000BC10: D2890052 00010F03
	s_and_b32 s82, s82, 0xffffff                               // 00000000BC18: 8652FF52 00FFFFFF
	s_cmp_lt_u32 s82, s66                                      // 00000000BC20: BF0A4252
	s_cselect_b32 s21, s36, s60                                // 00000000BC24: 85153C24
	s_mov_b64 exec, s[20:21]                                   // 00000000BC28: BEFE0114
	global_atomic_add_f32 v6, v65, s[8:9]                      // 00000000BC2C: DD348000 00084106
	global_atomic_add_f32 v6, v69, s[8:9] offset:256           // 00000000BC34: DD348100 00084506
	s_mov_b64 exec, s[36:37]                                   // 00000000BC3C: BEFE0124
	v_mov_b32_e32 v6, v50                                      // 00000000BC40: 7E0C0332
	s_mov_b64 s[60:61], 0                                      // 00000000BC44: BEBC0180
	v_readlane_b32 s82, v3, 8                                  // 00000000BC48: D2890052 00011103
	s_and_b32 s82, s82, 0xffffff                               // 00000000BC50: 8652FF52 00FFFFFF
	s_cmp_lt_u32 s82, s66                                      // 00000000BC58: BF0A4252
	s_cselect_b32 s20, s36, s60                                // 00000000BC5C: 85143C24
	v_readlane_b32 s82, v3, 9                                  // 00000000BC60: D2890052 00011303
	s_and_b32 s82, s82, 0xffffff                               // 00000000BC68: 8652FF52 00FFFFFF
	s_cmp_lt_u32 s82, s66                                      // 00000000BC70: BF0A4252
	s_cselect_b32 s21, s36, s60                                // 00000000BC74: 85153C24
	s_mov_b64 exec, s[20:21]                                   // 00000000BC78: BEFE0114
	global_atomic_add_f32 v6, v72, s[8:9]                      // 00000000BC7C: DD348000 00084806
	global_atomic_add_f32 v6, v76, s[8:9] offset:256           // 00000000BC84: DD348100 00084C06
	s_mov_b64 exec, s[36:37]                                   // 00000000BC8C: BEFE0124
	v_mov_b32_e32 v6, v51                                      // 00000000BC90: 7E0C0333
	s_mov_b64 s[60:61], 0                                      // 00000000BC94: BEBC0180
	v_readlane_b32 s82, v3, 10                                 // 00000000BC98: D2890052 00011503
	s_and_b32 s82, s82, 0xffffff                               // 00000000BCA0: 8652FF52 00FFFFFF
	s_cmp_lt_u32 s82, s66                                      // 00000000BCA8: BF0A4252
	s_cselect_b32 s20, s36, s60                                // 00000000BCAC: 85143C24
	v_readlane_b32 s82, v3, 11                                 // 00000000BCB0: D2890052 00011703
	s_and_b32 s82, s82, 0xffffff                               // 00000000BCB8: 8652FF52 00FFFFFF
	s_cmp_lt_u32 s82, s66                                      // 00000000BCC0: BF0A4252
	s_cselect_b32 s21, s36, s60                                // 00000000BCC4: 85153C24
	s_mov_b64 exec, s[20:21]                                   // 00000000BCC8: BEFE0114
	global_atomic_add_f32 v6, v73, s[8:9]                      // 00000000BCCC: DD348000 00084906
	global_atomic_add_f32 v6, v77, s[8:9] offset:256           // 00000000BCD4: DD348100 00084D06
	s_mov_b64 exec, s[36:37]                                   // 00000000BCDC: BEFE0124
	v_mov_b32_e32 v6, v52                                      // 00000000BCE0: 7E0C0334
	s_mov_b64 s[60:61], 0                                      // 00000000BCE4: BEBC0180
	v_readlane_b32 s82, v3, 12                                 // 00000000BCE8: D2890052 00011903
	s_and_b32 s82, s82, 0xffffff                               // 00000000BCF0: 8652FF52 00FFFFFF
	s_cmp_lt_u32 s82, s66                                      // 00000000BCF8: BF0A4252
	s_cselect_b32 s20, s36, s60                                // 00000000BCFC: 85143C24
	v_readlane_b32 s82, v3, 13                                 // 00000000BD00: D2890052 00011B03
	s_and_b32 s82, s82, 0xffffff                               // 00000000BD08: 8652FF52 00FFFFFF
	s_cmp_lt_u32 s82, s66                                      // 00000000BD10: BF0A4252
	s_cselect_b32 s21, s36, s60                                // 00000000BD14: 85153C24
	s_mov_b64 exec, s[20:21]                                   // 00000000BD18: BEFE0114
	global_atomic_add_f32 v6, v80, s[8:9]                      // 00000000BD1C: DD348000 00085006
	global_atomic_add_f32 v6, v84, s[8:9] offset:256           // 00000000BD24: DD348100 00085406
	s_mov_b64 exec, s[36:37]                                   // 00000000BD2C: BEFE0124
	v_mov_b32_e32 v6, v53                                      // 00000000BD30: 7E0C0335
	s_mov_b64 s[60:61], 0                                      // 00000000BD34: BEBC0180
	v_readlane_b32 s82, v3, 14                                 // 00000000BD38: D2890052 00011D03
	s_and_b32 s82, s82, 0xffffff                               // 00000000BD40: 8652FF52 00FFFFFF
	s_cmp_lt_u32 s82, s66                                      // 00000000BD48: BF0A4252
	s_cselect_b32 s20, s36, s60                                // 00000000BD4C: 85143C24
	v_readlane_b32 s82, v3, 15                                 // 00000000BD50: D2890052 00011F03
	s_and_b32 s82, s82, 0xffffff                               // 00000000BD58: 8652FF52 00FFFFFF
	s_cmp_lt_u32 s82, s66                                      // 00000000BD60: BF0A4252
	s_cselect_b32 s21, s36, s60                                // 00000000BD64: 85153C24
	s_mov_b64 exec, s[20:21]                                   // 00000000BD68: BEFE0114
	global_atomic_add_f32 v6, v81, s[8:9]                      // 00000000BD6C: DD348000 00085106
	global_atomic_add_f32 v6, v85, s[8:9] offset:256           // 00000000BD74: DD348100 00085506
	s_mov_b64 exec, s[36:37]                                   // 00000000BD7C: BEFE0124
	ds_write_b64 v20, v[58:59]                                 // 00000000BD80: D89A0000 00003A14
	ds_write_b64 v20, v[62:63] offset:4352                     // 00000000BD88: D89A1100 00003E14
	ds_write_b64 v20, v[66:67] offset:8704                     // 00000000BD90: D89A2200 00004214
	ds_write_b64 v20, v[70:71] offset:13056                    // 00000000BD98: D89A3300 00004614
	ds_write_b64 v20, v[74:75] offset:2176                     // 00000000BDA0: D89A0880 00004A14
	ds_write_b64 v20, v[78:79] offset:6528                     // 00000000BDA8: D89A1980 00004E14
	ds_write_b64 v20, v[82:83] offset:10880                    // 00000000BDB0: D89A2A80 00005214
	ds_write_b64 v20, v[86:87] offset:15232                    // 00000000BDB8: D89A3B80 00005614
	s_waitcnt lgkmcnt(0)                                       // 00000000BDC0: BF8CC07F
	s_barrier                                                  // 00000000BDC4: BF8A0000
	ds_read_b32 v58, v21                                       // 00000000BDC8: D86C0000 3A000015
	ds_read_b32 v59, v21 offset:64                             // 00000000BDD0: D86C0040 3B000015
	ds_read_b32 v62, v21 offset:2176                           // 00000000BDD8: D86C0880 3E000015
	ds_read_b32 v63, v21 offset:2240                           // 00000000BDE0: D86C08C0 3F000015
	ds_read_b32 v66, v21 offset:4352                           // 00000000BDE8: D86C1100 42000015
	ds_read_b32 v67, v21 offset:4416                           // 00000000BDF0: D86C1140 43000015
	ds_read_b32 v70, v21 offset:6528                           // 00000000BDF8: D86C1980 46000015
	ds_read_b32 v71, v21 offset:6592                           // 00000000BE00: D86C19C0 47000015
	ds_read_b32 v74, v21 offset:8704                           // 00000000BE08: D86C2200 4A000015
	ds_read_b32 v75, v21 offset:8768                           // 00000000BE10: D86C2240 4B000015
	ds_read_b32 v78, v21 offset:10880                          // 00000000BE18: D86C2A80 4E000015
	ds_read_b32 v79, v21 offset:10944                          // 00000000BE20: D86C2AC0 4F000015
	ds_read_b32 v82, v21 offset:13056                          // 00000000BE28: D86C3300 52000015
	ds_read_b32 v83, v21 offset:13120                          // 00000000BE30: D86C3340 53000015
	ds_read_b32 v86, v21 offset:15232                          // 00000000BE38: D86C3B80 56000015
	ds_read_b32 v87, v21 offset:15296                          // 00000000BE40: D86C3BC0 57000015
	s_waitcnt lgkmcnt(0)                                       // 00000000BE48: BF8CC07F
	v_mov_b32_e32 v7, 0                                        // 00000000BE4C: 7E0E0280
	s_mov_b64 exec, s[36:37]                                   // 00000000BE50: BEFE0124
	v_mov_b32_e32 v6, v46                                      // 00000000BE54: 7E0C032E
	s_mov_b64 s[60:61], 0                                      // 00000000BE58: BEBC0180
	v_readlane_b32 s82, v3, 0                                  // 00000000BE5C: D2890052 00010103
	s_and_b32 s82, s82, 0xffffff                               // 00000000BE64: 8652FF52 00FFFFFF
	s_cmp_lt_u32 s82, s66                                      // 00000000BE6C: BF0A4252
	s_cselect_b32 s20, s36, s60                                // 00000000BE70: 85143C24
	v_readlane_b32 s82, v3, 1                                  // 00000000BE74: D2890052 00010303
	s_and_b32 s82, s82, 0xffffff                               // 00000000BE7C: 8652FF52 00FFFFFF
	s_cmp_lt_u32 s82, s66                                      // 00000000BE84: BF0A4252
	s_cselect_b32 s21, s36, s60                                // 00000000BE88: 85153C24
	s_mov_b64 exec, s[20:21]                                   // 00000000BE8C: BEFE0114
	global_atomic_add_f32 v6, v58, s[8:9] offset:8             // 00000000BE90: DD348008 00083A06
	global_atomic_add_f32 v6, v62, s[8:9] offset:264           // 00000000BE98: DD348108 00083E06
	s_mov_b64 exec, s[36:37]                                   // 00000000BEA0: BEFE0124
	v_mov_b32_e32 v6, v47                                      // 00000000BEA4: 7E0C032F
	s_mov_b64 s[60:61], 0                                      // 00000000BEA8: BEBC0180
	v_readlane_b32 s82, v3, 2                                  // 00000000BEAC: D2890052 00010503
	s_and_b32 s82, s82, 0xffffff                               // 00000000BEB4: 8652FF52 00FFFFFF
	s_cmp_lt_u32 s82, s66                                      // 00000000BEBC: BF0A4252
	s_cselect_b32 s20, s36, s60                                // 00000000BEC0: 85143C24
	v_readlane_b32 s82, v3, 3                                  // 00000000BEC4: D2890052 00010703
	s_and_b32 s82, s82, 0xffffff                               // 00000000BECC: 8652FF52 00FFFFFF
	s_cmp_lt_u32 s82, s66                                      // 00000000BED4: BF0A4252
	s_cselect_b32 s21, s36, s60                                // 00000000BED8: 85153C24
	s_mov_b64 exec, s[20:21]                                   // 00000000BEDC: BEFE0114
	global_atomic_add_f32 v6, v59, s[8:9] offset:8             // 00000000BEE0: DD348008 00083B06
	global_atomic_add_f32 v6, v63, s[8:9] offset:264           // 00000000BEE8: DD348108 00083F06
	s_mov_b64 exec, s[36:37]                                   // 00000000BEF0: BEFE0124
	v_mov_b32_e32 v6, v48                                      // 00000000BEF4: 7E0C0330
	s_mov_b64 s[60:61], 0                                      // 00000000BEF8: BEBC0180
	v_readlane_b32 s82, v3, 4                                  // 00000000BEFC: D2890052 00010903
	s_and_b32 s82, s82, 0xffffff                               // 00000000BF04: 8652FF52 00FFFFFF
	s_cmp_lt_u32 s82, s66                                      // 00000000BF0C: BF0A4252
	s_cselect_b32 s20, s36, s60                                // 00000000BF10: 85143C24
	v_readlane_b32 s82, v3, 5                                  // 00000000BF14: D2890052 00010B03
	s_and_b32 s82, s82, 0xffffff                               // 00000000BF1C: 8652FF52 00FFFFFF
	s_cmp_lt_u32 s82, s66                                      // 00000000BF24: BF0A4252
	s_cselect_b32 s21, s36, s60                                // 00000000BF28: 85153C24
	s_mov_b64 exec, s[20:21]                                   // 00000000BF2C: BEFE0114
	global_atomic_add_f32 v6, v66, s[8:9] offset:8             // 00000000BF30: DD348008 00084206
	global_atomic_add_f32 v6, v70, s[8:9] offset:264           // 00000000BF38: DD348108 00084606
	s_mov_b64 exec, s[36:37]                                   // 00000000BF40: BEFE0124
	v_mov_b32_e32 v6, v49                                      // 00000000BF44: 7E0C0331
	s_mov_b64 s[60:61], 0                                      // 00000000BF48: BEBC0180
	v_readlane_b32 s82, v3, 6                                  // 00000000BF4C: D2890052 00010D03
	s_and_b32 s82, s82, 0xffffff                               // 00000000BF54: 8652FF52 00FFFFFF
	s_cmp_lt_u32 s82, s66                                      // 00000000BF5C: BF0A4252
	s_cselect_b32 s20, s36, s60                                // 00000000BF60: 85143C24
	v_readlane_b32 s82, v3, 7                                  // 00000000BF64: D2890052 00010F03
	s_and_b32 s82, s82, 0xffffff                               // 00000000BF6C: 8652FF52 00FFFFFF
	s_cmp_lt_u32 s82, s66                                      // 00000000BF74: BF0A4252
	s_cselect_b32 s21, s36, s60                                // 00000000BF78: 85153C24
	s_mov_b64 exec, s[20:21]                                   // 00000000BF7C: BEFE0114
	global_atomic_add_f32 v6, v67, s[8:9] offset:8             // 00000000BF80: DD348008 00084306
	global_atomic_add_f32 v6, v71, s[8:9] offset:264           // 00000000BF88: DD348108 00084706
	s_mov_b64 exec, s[36:37]                                   // 00000000BF90: BEFE0124
	v_mov_b32_e32 v6, v50                                      // 00000000BF94: 7E0C0332
	s_mov_b64 s[60:61], 0                                      // 00000000BF98: BEBC0180
	v_readlane_b32 s82, v3, 8                                  // 00000000BF9C: D2890052 00011103
	s_and_b32 s82, s82, 0xffffff                               // 00000000BFA4: 8652FF52 00FFFFFF
	s_cmp_lt_u32 s82, s66                                      // 00000000BFAC: BF0A4252
	s_cselect_b32 s20, s36, s60                                // 00000000BFB0: 85143C24
	v_readlane_b32 s82, v3, 9                                  // 00000000BFB4: D2890052 00011303
	s_and_b32 s82, s82, 0xffffff                               // 00000000BFBC: 8652FF52 00FFFFFF
	s_cmp_lt_u32 s82, s66                                      // 00000000BFC4: BF0A4252
	s_cselect_b32 s21, s36, s60                                // 00000000BFC8: 85153C24
	s_mov_b64 exec, s[20:21]                                   // 00000000BFCC: BEFE0114
	global_atomic_add_f32 v6, v74, s[8:9] offset:8             // 00000000BFD0: DD348008 00084A06
	global_atomic_add_f32 v6, v78, s[8:9] offset:264           // 00000000BFD8: DD348108 00084E06
	s_mov_b64 exec, s[36:37]                                   // 00000000BFE0: BEFE0124
	v_mov_b32_e32 v6, v51                                      // 00000000BFE4: 7E0C0333
	s_mov_b64 s[60:61], 0                                      // 00000000BFE8: BEBC0180
	v_readlane_b32 s82, v3, 10                                 // 00000000BFEC: D2890052 00011503
	s_and_b32 s82, s82, 0xffffff                               // 00000000BFF4: 8652FF52 00FFFFFF
	s_cmp_lt_u32 s82, s66                                      // 00000000BFFC: BF0A4252
	s_cselect_b32 s20, s36, s60                                // 00000000C000: 85143C24
	v_readlane_b32 s82, v3, 11                                 // 00000000C004: D2890052 00011703
	s_and_b32 s82, s82, 0xffffff                               // 00000000C00C: 8652FF52 00FFFFFF
	s_cmp_lt_u32 s82, s66                                      // 00000000C014: BF0A4252
	s_cselect_b32 s21, s36, s60                                // 00000000C018: 85153C24
	s_mov_b64 exec, s[20:21]                                   // 00000000C01C: BEFE0114
	global_atomic_add_f32 v6, v75, s[8:9] offset:8             // 00000000C020: DD348008 00084B06
	global_atomic_add_f32 v6, v79, s[8:9] offset:264           // 00000000C028: DD348108 00084F06
	s_mov_b64 exec, s[36:37]                                   // 00000000C030: BEFE0124
	v_mov_b32_e32 v6, v52                                      // 00000000C034: 7E0C0334
	s_mov_b64 s[60:61], 0                                      // 00000000C038: BEBC0180
	v_readlane_b32 s82, v3, 12                                 // 00000000C03C: D2890052 00011903
	s_and_b32 s82, s82, 0xffffff                               // 00000000C044: 8652FF52 00FFFFFF
	s_cmp_lt_u32 s82, s66                                      // 00000000C04C: BF0A4252
	s_cselect_b32 s20, s36, s60                                // 00000000C050: 85143C24
	v_readlane_b32 s82, v3, 13                                 // 00000000C054: D2890052 00011B03
	s_and_b32 s82, s82, 0xffffff                               // 00000000C05C: 8652FF52 00FFFFFF
	s_cmp_lt_u32 s82, s66                                      // 00000000C064: BF0A4252
	s_cselect_b32 s21, s36, s60                                // 00000000C068: 85153C24
	s_mov_b64 exec, s[20:21]                                   // 00000000C06C: BEFE0114
	global_atomic_add_f32 v6, v82, s[8:9] offset:8             // 00000000C070: DD348008 00085206
	global_atomic_add_f32 v6, v86, s[8:9] offset:264           // 00000000C078: DD348108 00085606
	s_mov_b64 exec, s[36:37]                                   // 00000000C080: BEFE0124
	v_mov_b32_e32 v6, v53                                      // 00000000C084: 7E0C0335
	s_mov_b64 s[60:61], 0                                      // 00000000C088: BEBC0180
	v_readlane_b32 s82, v3, 14                                 // 00000000C08C: D2890052 00011D03
	s_and_b32 s82, s82, 0xffffff                               // 00000000C094: 8652FF52 00FFFFFF
	s_cmp_lt_u32 s82, s66                                      // 00000000C09C: BF0A4252
	s_cselect_b32 s20, s36, s60                                // 00000000C0A0: 85143C24
	v_readlane_b32 s82, v3, 15                                 // 00000000C0A4: D2890052 00011F03
	s_and_b32 s82, s82, 0xffffff                               // 00000000C0AC: 8652FF52 00FFFFFF
	s_cmp_lt_u32 s82, s66                                      // 00000000C0B4: BF0A4252
	s_cselect_b32 s21, s36, s60                                // 00000000C0B8: 85153C24
	s_mov_b64 exec, s[20:21]                                   // 00000000C0BC: BEFE0114
	global_atomic_add_f32 v6, v83, s[8:9] offset:8             // 00000000C0C0: DD348008 00085306
	global_atomic_add_f32 v6, v87, s[8:9] offset:264           // 00000000C0C8: DD348108 00085706
	s_mov_b64 exec, s[36:37]                                   // 00000000C0D0: BEFE0124
	ds_write_b64 v20, v[88:89]                                 // 00000000C0D4: D89A0000 00005814
	ds_write_b64 v20, v[92:93] offset:4352                     // 00000000C0DC: D89A1100 00005C14
	ds_write_b64 v20, v[96:97] offset:8704                     // 00000000C0E4: D89A2200 00006014
	ds_write_b64 v20, v[100:101] offset:13056                  // 00000000C0EC: D89A3300 00006414
	ds_write_b64 v20, v[104:105] offset:2176                   // 00000000C0F4: D89A0880 00006814
	ds_write_b64 v20, v[108:109] offset:6528                   // 00000000C0FC: D89A1980 00006C14
	ds_write_b64 v20, v[112:113] offset:10880                  // 00000000C104: D89A2A80 00007014
	ds_write_b64 v20, v[116:117] offset:15232                  // 00000000C10C: D89A3B80 00007414
	s_waitcnt lgkmcnt(0)                                       // 00000000C114: BF8CC07F
	s_barrier                                                  // 00000000C118: BF8A0000
	ds_read_b32 v88, v21                                       // 00000000C11C: D86C0000 58000015
	ds_read_b32 v89, v21 offset:64                             // 00000000C124: D86C0040 59000015
	ds_read_b32 v92, v21 offset:2176                           // 00000000C12C: D86C0880 5C000015
	ds_read_b32 v93, v21 offset:2240                           // 00000000C134: D86C08C0 5D000015
	ds_read_b32 v96, v21 offset:4352                           // 00000000C13C: D86C1100 60000015
	ds_read_b32 v97, v21 offset:4416                           // 00000000C144: D86C1140 61000015
	ds_read_b32 v100, v21 offset:6528                          // 00000000C14C: D86C1980 64000015
	ds_read_b32 v101, v21 offset:6592                          // 00000000C154: D86C19C0 65000015
	ds_read_b32 v104, v21 offset:8704                          // 00000000C15C: D86C2200 68000015
	ds_read_b32 v105, v21 offset:8768                          // 00000000C164: D86C2240 69000015
	ds_read_b32 v108, v21 offset:10880                         // 00000000C16C: D86C2A80 6C000015
	ds_read_b32 v109, v21 offset:10944                         // 00000000C174: D86C2AC0 6D000015
	ds_read_b32 v112, v21 offset:13056                         // 00000000C17C: D86C3300 70000015
	ds_read_b32 v113, v21 offset:13120                         // 00000000C184: D86C3340 71000015
	ds_read_b32 v116, v21 offset:15232                         // 00000000C18C: D86C3B80 74000015
	ds_read_b32 v117, v21 offset:15296                         // 00000000C194: D86C3BC0 75000015
	s_mul_i32 s60, s65, 4                                      // 00000000C19C: 923C8441
	s_add_u32 s8, s60, s8                                      // 00000000C1A0: 8008083C
	s_addc_u32 s9, 0, s9                                       // 00000000C1A4: 82090980
	s_waitcnt lgkmcnt(0)                                       // 00000000C1A8: BF8CC07F
	v_mov_b32_e32 v7, 0                                        // 00000000C1AC: 7E0E0280
	s_mov_b64 exec, s[36:37]                                   // 00000000C1B0: BEFE0124
	v_mov_b32_e32 v6, v46                                      // 00000000C1B4: 7E0C032E
	s_mov_b64 s[60:61], 0                                      // 00000000C1B8: BEBC0180
	v_readlane_b32 s82, v3, 0                                  // 00000000C1BC: D2890052 00010103
	s_and_b32 s82, s82, 0xffffff                               // 00000000C1C4: 8652FF52 00FFFFFF
	s_cmp_lt_u32 s82, s66                                      // 00000000C1CC: BF0A4252
	s_cselect_b32 s20, s36, s60                                // 00000000C1D0: 85143C24
	v_readlane_b32 s82, v3, 1                                  // 00000000C1D4: D2890052 00010303
	s_and_b32 s82, s82, 0xffffff                               // 00000000C1DC: 8652FF52 00FFFFFF
	s_cmp_lt_u32 s82, s66                                      // 00000000C1E4: BF0A4252
	s_cselect_b32 s21, s36, s60                                // 00000000C1E8: 85153C24
	s_mov_b64 exec, s[20:21]                                   // 00000000C1EC: BEFE0114
	global_atomic_add_f32 v6, v88, s[8:9]                      // 00000000C1F0: DD348000 00085806
	global_atomic_add_f32 v6, v92, s[8:9] offset:256           // 00000000C1F8: DD348100 00085C06
	s_mov_b64 exec, s[36:37]                                   // 00000000C200: BEFE0124
	v_mov_b32_e32 v6, v47                                      // 00000000C204: 7E0C032F
	s_mov_b64 s[60:61], 0                                      // 00000000C208: BEBC0180
	v_readlane_b32 s82, v3, 2                                  // 00000000C20C: D2890052 00010503
	s_and_b32 s82, s82, 0xffffff                               // 00000000C214: 8652FF52 00FFFFFF
	s_cmp_lt_u32 s82, s66                                      // 00000000C21C: BF0A4252
	s_cselect_b32 s20, s36, s60                                // 00000000C220: 85143C24
	v_readlane_b32 s82, v3, 3                                  // 00000000C224: D2890052 00010703
	s_and_b32 s82, s82, 0xffffff                               // 00000000C22C: 8652FF52 00FFFFFF
	s_cmp_lt_u32 s82, s66                                      // 00000000C234: BF0A4252
	s_cselect_b32 s21, s36, s60                                // 00000000C238: 85153C24
	s_mov_b64 exec, s[20:21]                                   // 00000000C23C: BEFE0114
	global_atomic_add_f32 v6, v89, s[8:9]                      // 00000000C240: DD348000 00085906
	global_atomic_add_f32 v6, v93, s[8:9] offset:256           // 00000000C248: DD348100 00085D06
	s_mov_b64 exec, s[36:37]                                   // 00000000C250: BEFE0124
	v_mov_b32_e32 v6, v48                                      // 00000000C254: 7E0C0330
	s_mov_b64 s[60:61], 0                                      // 00000000C258: BEBC0180
	v_readlane_b32 s82, v3, 4                                  // 00000000C25C: D2890052 00010903
	s_and_b32 s82, s82, 0xffffff                               // 00000000C264: 8652FF52 00FFFFFF
	s_cmp_lt_u32 s82, s66                                      // 00000000C26C: BF0A4252
	s_cselect_b32 s20, s36, s60                                // 00000000C270: 85143C24
	v_readlane_b32 s82, v3, 5                                  // 00000000C274: D2890052 00010B03
	s_and_b32 s82, s82, 0xffffff                               // 00000000C27C: 8652FF52 00FFFFFF
	s_cmp_lt_u32 s82, s66                                      // 00000000C284: BF0A4252
	s_cselect_b32 s21, s36, s60                                // 00000000C288: 85153C24
	s_mov_b64 exec, s[20:21]                                   // 00000000C28C: BEFE0114
	global_atomic_add_f32 v6, v96, s[8:9]                      // 00000000C290: DD348000 00086006
	global_atomic_add_f32 v6, v100, s[8:9] offset:256          // 00000000C298: DD348100 00086406
	s_mov_b64 exec, s[36:37]                                   // 00000000C2A0: BEFE0124
	v_mov_b32_e32 v6, v49                                      // 00000000C2A4: 7E0C0331
	s_mov_b64 s[60:61], 0                                      // 00000000C2A8: BEBC0180
	v_readlane_b32 s82, v3, 6                                  // 00000000C2AC: D2890052 00010D03
	s_and_b32 s82, s82, 0xffffff                               // 00000000C2B4: 8652FF52 00FFFFFF
	s_cmp_lt_u32 s82, s66                                      // 00000000C2BC: BF0A4252
	s_cselect_b32 s20, s36, s60                                // 00000000C2C0: 85143C24
	v_readlane_b32 s82, v3, 7                                  // 00000000C2C4: D2890052 00010F03
	s_and_b32 s82, s82, 0xffffff                               // 00000000C2CC: 8652FF52 00FFFFFF
	s_cmp_lt_u32 s82, s66                                      // 00000000C2D4: BF0A4252
	s_cselect_b32 s21, s36, s60                                // 00000000C2D8: 85153C24
	s_mov_b64 exec, s[20:21]                                   // 00000000C2DC: BEFE0114
	global_atomic_add_f32 v6, v97, s[8:9]                      // 00000000C2E0: DD348000 00086106
	global_atomic_add_f32 v6, v101, s[8:9] offset:256          // 00000000C2E8: DD348100 00086506
	s_mov_b64 exec, s[36:37]                                   // 00000000C2F0: BEFE0124
	v_mov_b32_e32 v6, v50                                      // 00000000C2F4: 7E0C0332
	s_mov_b64 s[60:61], 0                                      // 00000000C2F8: BEBC0180
	v_readlane_b32 s82, v3, 8                                  // 00000000C2FC: D2890052 00011103
	s_and_b32 s82, s82, 0xffffff                               // 00000000C304: 8652FF52 00FFFFFF
	s_cmp_lt_u32 s82, s66                                      // 00000000C30C: BF0A4252
	s_cselect_b32 s20, s36, s60                                // 00000000C310: 85143C24
	v_readlane_b32 s82, v3, 9                                  // 00000000C314: D2890052 00011303
	s_and_b32 s82, s82, 0xffffff                               // 00000000C31C: 8652FF52 00FFFFFF
	s_cmp_lt_u32 s82, s66                                      // 00000000C324: BF0A4252
	s_cselect_b32 s21, s36, s60                                // 00000000C328: 85153C24
	s_mov_b64 exec, s[20:21]                                   // 00000000C32C: BEFE0114
	global_atomic_add_f32 v6, v104, s[8:9]                     // 00000000C330: DD348000 00086806
	global_atomic_add_f32 v6, v108, s[8:9] offset:256          // 00000000C338: DD348100 00086C06
	s_mov_b64 exec, s[36:37]                                   // 00000000C340: BEFE0124
	v_mov_b32_e32 v6, v51                                      // 00000000C344: 7E0C0333
	s_mov_b64 s[60:61], 0                                      // 00000000C348: BEBC0180
	v_readlane_b32 s82, v3, 10                                 // 00000000C34C: D2890052 00011503
	s_and_b32 s82, s82, 0xffffff                               // 00000000C354: 8652FF52 00FFFFFF
	s_cmp_lt_u32 s82, s66                                      // 00000000C35C: BF0A4252
	s_cselect_b32 s20, s36, s60                                // 00000000C360: 85143C24
	v_readlane_b32 s82, v3, 11                                 // 00000000C364: D2890052 00011703
	s_and_b32 s82, s82, 0xffffff                               // 00000000C36C: 8652FF52 00FFFFFF
	s_cmp_lt_u32 s82, s66                                      // 00000000C374: BF0A4252
	s_cselect_b32 s21, s36, s60                                // 00000000C378: 85153C24
	s_mov_b64 exec, s[20:21]                                   // 00000000C37C: BEFE0114
	global_atomic_add_f32 v6, v105, s[8:9]                     // 00000000C380: DD348000 00086906
	global_atomic_add_f32 v6, v109, s[8:9] offset:256          // 00000000C388: DD348100 00086D06
	s_mov_b64 exec, s[36:37]                                   // 00000000C390: BEFE0124
	v_mov_b32_e32 v6, v52                                      // 00000000C394: 7E0C0334
	s_mov_b64 s[60:61], 0                                      // 00000000C398: BEBC0180
	v_readlane_b32 s82, v3, 12                                 // 00000000C39C: D2890052 00011903
	s_and_b32 s82, s82, 0xffffff                               // 00000000C3A4: 8652FF52 00FFFFFF
	s_cmp_lt_u32 s82, s66                                      // 00000000C3AC: BF0A4252
	s_cselect_b32 s20, s36, s60                                // 00000000C3B0: 85143C24
	v_readlane_b32 s82, v3, 13                                 // 00000000C3B4: D2890052 00011B03
	s_and_b32 s82, s82, 0xffffff                               // 00000000C3BC: 8652FF52 00FFFFFF
	s_cmp_lt_u32 s82, s66                                      // 00000000C3C4: BF0A4252
	s_cselect_b32 s21, s36, s60                                // 00000000C3C8: 85153C24
	s_mov_b64 exec, s[20:21]                                   // 00000000C3CC: BEFE0114
	global_atomic_add_f32 v6, v112, s[8:9]                     // 00000000C3D0: DD348000 00087006
	global_atomic_add_f32 v6, v116, s[8:9] offset:256          // 00000000C3D8: DD348100 00087406
	s_mov_b64 exec, s[36:37]                                   // 00000000C3E0: BEFE0124
	v_mov_b32_e32 v6, v53                                      // 00000000C3E4: 7E0C0335
	s_mov_b64 s[60:61], 0                                      // 00000000C3E8: BEBC0180
	v_readlane_b32 s82, v3, 14                                 // 00000000C3EC: D2890052 00011D03
	s_and_b32 s82, s82, 0xffffff                               // 00000000C3F4: 8652FF52 00FFFFFF
	s_cmp_lt_u32 s82, s66                                      // 00000000C3FC: BF0A4252
	s_cselect_b32 s20, s36, s60                                // 00000000C400: 85143C24
	v_readlane_b32 s82, v3, 15                                 // 00000000C404: D2890052 00011F03
	s_and_b32 s82, s82, 0xffffff                               // 00000000C40C: 8652FF52 00FFFFFF
	s_cmp_lt_u32 s82, s66                                      // 00000000C414: BF0A4252
	s_cselect_b32 s21, s36, s60                                // 00000000C418: 85153C24
	s_mov_b64 exec, s[20:21]                                   // 00000000C41C: BEFE0114
	global_atomic_add_f32 v6, v113, s[8:9]                     // 00000000C420: DD348000 00087106
	global_atomic_add_f32 v6, v117, s[8:9] offset:256          // 00000000C428: DD348100 00087506
	s_mov_b64 exec, s[36:37]                                   // 00000000C430: BEFE0124
	ds_write_b64 v20, v[90:91]                                 // 00000000C434: D89A0000 00005A14
	ds_write_b64 v20, v[94:95] offset:4352                     // 00000000C43C: D89A1100 00005E14
	ds_write_b64 v20, v[98:99] offset:8704                     // 00000000C444: D89A2200 00006214
	ds_write_b64 v20, v[102:103] offset:13056                  // 00000000C44C: D89A3300 00006614
	ds_write_b64 v20, v[106:107] offset:2176                   // 00000000C454: D89A0880 00006A14
	ds_write_b64 v20, v[110:111] offset:6528                   // 00000000C45C: D89A1980 00006E14
	ds_write_b64 v20, v[114:115] offset:10880                  // 00000000C464: D89A2A80 00007214
	ds_write_b64 v20, v[118:119] offset:15232                  // 00000000C46C: D89A3B80 00007614
	s_waitcnt lgkmcnt(0)                                       // 00000000C474: BF8CC07F
	s_barrier                                                  // 00000000C478: BF8A0000
	ds_read_b32 v90, v21                                       // 00000000C47C: D86C0000 5A000015
	ds_read_b32 v91, v21 offset:64                             // 00000000C484: D86C0040 5B000015
	ds_read_b32 v94, v21 offset:2176                           // 00000000C48C: D86C0880 5E000015
	ds_read_b32 v95, v21 offset:2240                           // 00000000C494: D86C08C0 5F000015
	ds_read_b32 v98, v21 offset:4352                           // 00000000C49C: D86C1100 62000015
	ds_read_b32 v99, v21 offset:4416                           // 00000000C4A4: D86C1140 63000015
	ds_read_b32 v102, v21 offset:6528                          // 00000000C4AC: D86C1980 66000015
	ds_read_b32 v103, v21 offset:6592                          // 00000000C4B4: D86C19C0 67000015
	ds_read_b32 v106, v21 offset:8704                          // 00000000C4BC: D86C2200 6A000015
	ds_read_b32 v107, v21 offset:8768                          // 00000000C4C4: D86C2240 6B000015
	ds_read_b32 v110, v21 offset:10880                         // 00000000C4CC: D86C2A80 6E000015
	ds_read_b32 v111, v21 offset:10944                         // 00000000C4D4: D86C2AC0 6F000015
	ds_read_b32 v114, v21 offset:13056                         // 00000000C4DC: D86C3300 72000015
	ds_read_b32 v115, v21 offset:13120                         // 00000000C4E4: D86C3340 73000015
	ds_read_b32 v118, v21 offset:15232                         // 00000000C4EC: D86C3B80 76000015
	ds_read_b32 v119, v21 offset:15296                         // 00000000C4F4: D86C3BC0 77000015
	s_waitcnt lgkmcnt(0)                                       // 00000000C4FC: BF8CC07F
	v_mov_b32_e32 v7, 0                                        // 00000000C500: 7E0E0280
	s_mov_b64 exec, s[36:37]                                   // 00000000C504: BEFE0124
	v_mov_b32_e32 v6, v46                                      // 00000000C508: 7E0C032E
	s_mov_b64 s[60:61], 0                                      // 00000000C50C: BEBC0180
	v_readlane_b32 s82, v3, 0                                  // 00000000C510: D2890052 00010103
	s_and_b32 s82, s82, 0xffffff                               // 00000000C518: 8652FF52 00FFFFFF
	s_cmp_lt_u32 s82, s66                                      // 00000000C520: BF0A4252
	s_cselect_b32 s20, s36, s60                                // 00000000C524: 85143C24
	v_readlane_b32 s82, v3, 1                                  // 00000000C528: D2890052 00010303
	s_and_b32 s82, s82, 0xffffff                               // 00000000C530: 8652FF52 00FFFFFF
	s_cmp_lt_u32 s82, s66                                      // 00000000C538: BF0A4252
	s_cselect_b32 s21, s36, s60                                // 00000000C53C: 85153C24
	s_mov_b64 exec, s[20:21]                                   // 00000000C540: BEFE0114
	global_atomic_add_f32 v6, v90, s[8:9] offset:8             // 00000000C544: DD348008 00085A06
	global_atomic_add_f32 v6, v94, s[8:9] offset:264           // 00000000C54C: DD348108 00085E06
	s_mov_b64 exec, s[36:37]                                   // 00000000C554: BEFE0124
	v_mov_b32_e32 v6, v47                                      // 00000000C558: 7E0C032F
	s_mov_b64 s[60:61], 0                                      // 00000000C55C: BEBC0180
	v_readlane_b32 s82, v3, 2                                  // 00000000C560: D2890052 00010503
	s_and_b32 s82, s82, 0xffffff                               // 00000000C568: 8652FF52 00FFFFFF
	s_cmp_lt_u32 s82, s66                                      // 00000000C570: BF0A4252
	s_cselect_b32 s20, s36, s60                                // 00000000C574: 85143C24
	v_readlane_b32 s82, v3, 3                                  // 00000000C578: D2890052 00010703
	s_and_b32 s82, s82, 0xffffff                               // 00000000C580: 8652FF52 00FFFFFF
	s_cmp_lt_u32 s82, s66                                      // 00000000C588: BF0A4252
	s_cselect_b32 s21, s36, s60                                // 00000000C58C: 85153C24
	s_mov_b64 exec, s[20:21]                                   // 00000000C590: BEFE0114
	global_atomic_add_f32 v6, v91, s[8:9] offset:8             // 00000000C594: DD348008 00085B06
	global_atomic_add_f32 v6, v95, s[8:9] offset:264           // 00000000C59C: DD348108 00085F06
	s_mov_b64 exec, s[36:37]                                   // 00000000C5A4: BEFE0124
	v_mov_b32_e32 v6, v48                                      // 00000000C5A8: 7E0C0330
	s_mov_b64 s[60:61], 0                                      // 00000000C5AC: BEBC0180
	v_readlane_b32 s82, v3, 4                                  // 00000000C5B0: D2890052 00010903
	s_and_b32 s82, s82, 0xffffff                               // 00000000C5B8: 8652FF52 00FFFFFF
	s_cmp_lt_u32 s82, s66                                      // 00000000C5C0: BF0A4252
	s_cselect_b32 s20, s36, s60                                // 00000000C5C4: 85143C24
	v_readlane_b32 s82, v3, 5                                  // 00000000C5C8: D2890052 00010B03
	s_and_b32 s82, s82, 0xffffff                               // 00000000C5D0: 8652FF52 00FFFFFF
	s_cmp_lt_u32 s82, s66                                      // 00000000C5D8: BF0A4252
	s_cselect_b32 s21, s36, s60                                // 00000000C5DC: 85153C24
	s_mov_b64 exec, s[20:21]                                   // 00000000C5E0: BEFE0114
	global_atomic_add_f32 v6, v98, s[8:9] offset:8             // 00000000C5E4: DD348008 00086206
	global_atomic_add_f32 v6, v102, s[8:9] offset:264          // 00000000C5EC: DD348108 00086606
	s_mov_b64 exec, s[36:37]                                   // 00000000C5F4: BEFE0124
	v_mov_b32_e32 v6, v49                                      // 00000000C5F8: 7E0C0331
	s_mov_b64 s[60:61], 0                                      // 00000000C5FC: BEBC0180
	v_readlane_b32 s82, v3, 6                                  // 00000000C600: D2890052 00010D03
	s_and_b32 s82, s82, 0xffffff                               // 00000000C608: 8652FF52 00FFFFFF
	s_cmp_lt_u32 s82, s66                                      // 00000000C610: BF0A4252
	s_cselect_b32 s20, s36, s60                                // 00000000C614: 85143C24
	v_readlane_b32 s82, v3, 7                                  // 00000000C618: D2890052 00010F03
	s_and_b32 s82, s82, 0xffffff                               // 00000000C620: 8652FF52 00FFFFFF
	s_cmp_lt_u32 s82, s66                                      // 00000000C628: BF0A4252
	s_cselect_b32 s21, s36, s60                                // 00000000C62C: 85153C24
	s_mov_b64 exec, s[20:21]                                   // 00000000C630: BEFE0114
	global_atomic_add_f32 v6, v99, s[8:9] offset:8             // 00000000C634: DD348008 00086306
	global_atomic_add_f32 v6, v103, s[8:9] offset:264          // 00000000C63C: DD348108 00086706
	s_mov_b64 exec, s[36:37]                                   // 00000000C644: BEFE0124
	v_mov_b32_e32 v6, v50                                      // 00000000C648: 7E0C0332
	s_mov_b64 s[60:61], 0                                      // 00000000C64C: BEBC0180
	v_readlane_b32 s82, v3, 8                                  // 00000000C650: D2890052 00011103
	s_and_b32 s82, s82, 0xffffff                               // 00000000C658: 8652FF52 00FFFFFF
	s_cmp_lt_u32 s82, s66                                      // 00000000C660: BF0A4252
	s_cselect_b32 s20, s36, s60                                // 00000000C664: 85143C24
	v_readlane_b32 s82, v3, 9                                  // 00000000C668: D2890052 00011303
	s_and_b32 s82, s82, 0xffffff                               // 00000000C670: 8652FF52 00FFFFFF
	s_cmp_lt_u32 s82, s66                                      // 00000000C678: BF0A4252
	s_cselect_b32 s21, s36, s60                                // 00000000C67C: 85153C24
	s_mov_b64 exec, s[20:21]                                   // 00000000C680: BEFE0114
	global_atomic_add_f32 v6, v106, s[8:9] offset:8            // 00000000C684: DD348008 00086A06
	global_atomic_add_f32 v6, v110, s[8:9] offset:264          // 00000000C68C: DD348108 00086E06
	s_mov_b64 exec, s[36:37]                                   // 00000000C694: BEFE0124
	v_mov_b32_e32 v6, v51                                      // 00000000C698: 7E0C0333
	s_mov_b64 s[60:61], 0                                      // 00000000C69C: BEBC0180
	v_readlane_b32 s82, v3, 10                                 // 00000000C6A0: D2890052 00011503
	s_and_b32 s82, s82, 0xffffff                               // 00000000C6A8: 8652FF52 00FFFFFF
	s_cmp_lt_u32 s82, s66                                      // 00000000C6B0: BF0A4252
	s_cselect_b32 s20, s36, s60                                // 00000000C6B4: 85143C24
	v_readlane_b32 s82, v3, 11                                 // 00000000C6B8: D2890052 00011703
	s_and_b32 s82, s82, 0xffffff                               // 00000000C6C0: 8652FF52 00FFFFFF
	s_cmp_lt_u32 s82, s66                                      // 00000000C6C8: BF0A4252
	s_cselect_b32 s21, s36, s60                                // 00000000C6CC: 85153C24
	s_mov_b64 exec, s[20:21]                                   // 00000000C6D0: BEFE0114
	global_atomic_add_f32 v6, v107, s[8:9] offset:8            // 00000000C6D4: DD348008 00086B06
	global_atomic_add_f32 v6, v111, s[8:9] offset:264          // 00000000C6DC: DD348108 00086F06
	s_mov_b64 exec, s[36:37]                                   // 00000000C6E4: BEFE0124
	v_mov_b32_e32 v6, v52                                      // 00000000C6E8: 7E0C0334
	s_mov_b64 s[60:61], 0                                      // 00000000C6EC: BEBC0180
	v_readlane_b32 s82, v3, 12                                 // 00000000C6F0: D2890052 00011903
	s_and_b32 s82, s82, 0xffffff                               // 00000000C6F8: 8652FF52 00FFFFFF
	s_cmp_lt_u32 s82, s66                                      // 00000000C700: BF0A4252
	s_cselect_b32 s20, s36, s60                                // 00000000C704: 85143C24
	v_readlane_b32 s82, v3, 13                                 // 00000000C708: D2890052 00011B03
	s_and_b32 s82, s82, 0xffffff                               // 00000000C710: 8652FF52 00FFFFFF
	s_cmp_lt_u32 s82, s66                                      // 00000000C718: BF0A4252
	s_cselect_b32 s21, s36, s60                                // 00000000C71C: 85153C24
	s_mov_b64 exec, s[20:21]                                   // 00000000C720: BEFE0114
	global_atomic_add_f32 v6, v114, s[8:9] offset:8            // 00000000C724: DD348008 00087206
	global_atomic_add_f32 v6, v118, s[8:9] offset:264          // 00000000C72C: DD348108 00087606
	s_mov_b64 exec, s[36:37]                                   // 00000000C734: BEFE0124
	v_mov_b32_e32 v6, v53                                      // 00000000C738: 7E0C0335
	s_mov_b64 s[60:61], 0                                      // 00000000C73C: BEBC0180
	v_readlane_b32 s82, v3, 14                                 // 00000000C740: D2890052 00011D03
	s_and_b32 s82, s82, 0xffffff                               // 00000000C748: 8652FF52 00FFFFFF
	s_cmp_lt_u32 s82, s66                                      // 00000000C750: BF0A4252
	s_cselect_b32 s20, s36, s60                                // 00000000C754: 85143C24
	v_readlane_b32 s82, v3, 15                                 // 00000000C758: D2890052 00011F03
	s_and_b32 s82, s82, 0xffffff                               // 00000000C760: 8652FF52 00FFFFFF
	s_cmp_lt_u32 s82, s66                                      // 00000000C768: BF0A4252
	s_cselect_b32 s21, s36, s60                                // 00000000C76C: 85153C24
	s_mov_b64 exec, s[20:21]                                   // 00000000C770: BEFE0114
	global_atomic_add_f32 v6, v115, s[8:9] offset:8            // 00000000C774: DD348008 00087306
	global_atomic_add_f32 v6, v119, s[8:9] offset:264          // 00000000C77C: DD348108 00087706
	s_mov_b64 exec, s[36:37]                                   // 00000000C784: BEFE0124
	s_branch label_2766                                        // 00000000C788: BF820000

000000000000c78c <label_2766>:
	s_waitcnt vmcnt(0) expcnt(0) lgkmcnt(0)                    // 00000000C78C: BF8C0000
	s_endpgm                                                   // 00000000C790: BF810000
